;; amdgpu-corpus repo=ROCm/aiter kind=harvested arch=n/a opt=n/a

/root/src/amdgpu-assembly/repos/ROCm__aiter/hsa/gfx950/fmoe/gelu/fmoe_bf16_blockscaleFp8_g1u1_vs_gelu_1tg_pf2_16x128.co:	file format elf64-amdgpu

Disassembly of section .text:

0000000000002e00 <_ZN5aiter47fmoe_bf16_blockscaleFp8_g1u1_vs_pf2_gelu_16x128E>:
	s_and_b32 s1, s1, 0xffff                                   // 000000002E00: 8601FF01 0000FFFF
	s_load_dwordx2 s[8:9], s[0:1], 0x0                         // 000000002E08: C0060200 00000000
	s_load_dwordx2 s[20:21], s[0:1], 0x10                      // 000000002E10: C0060500 00000010
	s_load_dwordx2 s[24:25], s[0:1], 0x20                      // 000000002E18: C0060600 00000020
	s_load_dwordx2 s[50:51], s[0:1], 0x30                      // 000000002E20: C0060C80 00000030
	s_load_dwordx2 s[12:13], s[0:1], 0x40                      // 000000002E28: C0060300 00000040
	s_load_dwordx2 s[28:29], s[0:1], 0x50                      // 000000002E30: C0060700 00000050
	s_load_dwordx2 s[32:33], s[0:1], 0x60                      // 000000002E38: C0060800 00000060
	s_load_dwordx2 s[16:17], s[0:1], 0x70                      // 000000002E40: C0060400 00000070
	s_load_dwordx2 s[36:37], s[0:1], 0x80                      // 000000002E48: C0060900 00000080
	s_load_dwordx2 s[44:45], s[0:1], 0x90                      // 000000002E50: C0060B00 00000090
	s_load_dwordx2 s[40:41], s[0:1], 0xa0                      // 000000002E58: C0060A00 000000A0
	s_load_dwordx2 s[46:47], s[0:1], 0xb0                      // 000000002E60: C0060B80 000000B0
	s_load_dword s64, s[0:1], 0xc0                             // 000000002E68: C0021000 000000C0
	s_load_dword s65, s[0:1], 0xd0                             // 000000002E70: C0021040 000000D0
	s_load_dword s66, s[0:1], 0xe0                             // 000000002E78: C0021080 000000E0
	s_load_dword s67, s[0:1], 0xf0                             // 000000002E80: C00210C0 000000F0
	s_load_dword s68, s[0:1], 0x100                            // 000000002E88: C0021100 00000100
	s_load_dword s69, s[0:1], 0x110                            // 000000002E90: C0021140 00000110
	s_load_dword s70, s[0:1], 0x120                            // 000000002E98: C0021180 00000120
	s_load_dword s71, s[0:1], 0x130                            // 000000002EA0: C00211C0 00000130
	s_load_dword s72, s[0:1], 0x140                            // 000000002EA8: C0021200 00000140
	s_load_dword s73, s[0:1], 0x150                            // 000000002EB0: C0021240 00000150
	s_load_dword s74, s[0:1], 0x160                            // 000000002EB8: C0021280 00000160
	s_load_dword s75, s[0:1], 0x170                            // 000000002EC0: C00212C0 00000170
	s_load_dword s76, s[0:1], 0x180                            // 000000002EC8: C0021300 00000180
	v_lshrrev_b32_e32 v1, 10, v0                               // 000000002ED0: 2002008A
	v_lshrrev_b32_e32 v2, 10, v1                               // 000000002ED4: 2004028A
	v_and_b32_e32 v2, 0x3ff, v2                                // 000000002ED8: 260404FF 000003FF
	v_and_b32_e32 v1, 0x3ff, v1                                // 000000002EE0: 260202FF 000003FF
	v_and_b32_e32 v0, 0x3ff, v0                                // 000000002EE8: 260000FF 000003FF
	v_lshrrev_b32_e32 v3, 6, v0                                // 000000002EF0: 20060086
	v_and_b32_e32 v0, 63, v0                                   // 000000002EF4: 260000BF
	s_mov_b32 s2, s2                                           // 000000002EF8: BE820002
	s_mov_b32 s3, s3                                           // 000000002EFC: BE830003
	s_mov_b32 s4, s4                                           // 000000002F00: BE840004
	v_readfirstlane_b32 s7, v3                                 // 000000002F04: 7E0E0503
	s_waitcnt lgkmcnt(0)                                       // 000000002F08: BF8CC07F
	s_and_b32 s51, s51, 0xffff                                 // 000000002F0C: 8633FF33 0000FFFF
	s_load_dword s50, s[50:51], 0x0                            // 000000002F14: C0020C99 00000000
	s_and_b32 s45, s45, 0xffff                                 // 000000002F1C: 862DFF2D 0000FFFF
	s_and_b32 s47, s47, 0xffff                                 // 000000002F24: 862FFF2F 0000FFFF
	s_and_b32 s9, s9, 0xffff                                   // 000000002F2C: 8609FF09 0000FFFF
	s_mul_i32 s60, s66, s68                                    // 000000002F34: 923C4442
	s_mul_i32 s61, s66, 4                                      // 000000002F38: 923D8442
	s_mov_b32 s22, s60                                         // 000000002F3C: BE96003C
	s_mov_b32 s26, -16                                         // 000000002F40: BE9A00D0
	s_mov_b32 s14, -16                                         // 000000002F44: BE8E00D0
	s_mov_b32 s42, -16                                         // 000000002F48: BEAA00D0
	s_mov_b32 s30, -16                                         // 000000002F4C: BE9E00D0
	s_mov_b32 s34, -16                                         // 000000002F50: BEA200D0
	s_mov_b32 s38, -16                                         // 000000002F54: BEA600D0
	s_mov_b32 s18, -16                                         // 000000002F58: BE9200D0
	s_mul_i32 s60, s66, s71                                    // 000000002F5C: 923C4742
	s_mov_b32 s10, s60                                         // 000000002F60: BE8A003C
	s_mov_b32 s23, 0x20000                                     // 000000002F64: BE9700FF 00020000
	s_mov_b32 s27, 0x20000                                     // 000000002F6C: BE9B00FF 00020000
	s_mov_b32 s15, 0x20000                                     // 000000002F74: BE8F00FF 00020000
	s_mov_b32 s43, 0x20000                                     // 000000002F7C: BEAB00FF 00020000
	s_mov_b32 s31, 0x20000                                     // 000000002F84: BE9F00FF 00020000
	s_mov_b32 s35, 0x20000                                     // 000000002F8C: BEA300FF 00020000
	s_mov_b32 s39, 0x20000                                     // 000000002F94: BEA700FF 00020000
	s_mov_b32 s19, 0x20000                                     // 000000002F9C: BE9300FF 00020000
	s_mov_b32 s11, 0x20000                                     // 000000002FA4: BE8B00FF 00020000
	s_and_b32 s21, s21, 0xffff                                 // 000000002FAC: 8615FF15 0000FFFF
	s_and_b32 s25, s25, 0xffff                                 // 000000002FB4: 8619FF19 0000FFFF
	s_and_b32 s13, s13, 0xffff                                 // 000000002FBC: 860DFF0D 0000FFFF
	s_and_b32 s41, s41, 0xffff                                 // 000000002FC4: 8629FF29 0000FFFF
	s_and_b32 s29, s29, 0xffff                                 // 000000002FCC: 861DFF1D 0000FFFF
	s_and_b32 s33, s33, 0xffff                                 // 000000002FD4: 8621FF21 0000FFFF
	s_and_b32 s37, s37, 0xffff                                 // 000000002FDC: 8625FF25 0000FFFF
	s_and_b32 s17, s17, 0xffff                                 // 000000002FE4: 8611FF11 0000FFFF
	s_or_b32 s21, s21, 0x40000                                 // 000000002FEC: 8715FF15 00040000
	s_or_b32 s25, s25, 0x40000                                 // 000000002FF4: 8719FF19 00040000
	s_or_b32 s13, s13, 0x40000                                 // 000000002FFC: 870DFF0D 00040000
	s_or_b32 s41, s41, 0x40000                                 // 000000003004: 8729FF29 00040000
	s_or_b32 s29, s29, 0x40000                                 // 00000000300C: 871DFF1D 00040000
	s_or_b32 s33, s33, 0x40000                                 // 000000003014: 8721FF21 00040000
	s_or_b32 s37, s37, 0x40000                                 // 00000000301C: 8725FF25 00040000
	s_or_b32 s17, s17, 0x40000                                 // 000000003024: 8711FF11 00040000
	v_accvgpr_write_b32 a191, 0                                // 00000000302C: D3D940BF 18000080
	v_mov_b32_e32 v159, 0                                      // 000000003034: 7F3E0280
	s_waitcnt lgkmcnt(0)                                       // 000000003038: BF8CC07F
	s_mul_i32 s60, s3, 16                                      // 00000000303C: 923C9003
	s_cmp_lt_i32 s60, s50                                      // 000000003040: BF04323C
	s_cbranch_scc0 label_10F5                                  // 000000003044: BF841063
	s_mov_b32 s80, 0                                           // 000000003048: BED00080
	s_mov_b32 s81, s64                                         // 00000000304C: BED10040
	s_mul_i32 s60, s3, 4                                       // 000000003050: 923C8403
	s_add_u32 s46, s60, s46                                    // 000000003054: 802E2E3C
	s_addc_u32 s47, 0, s47                                     // 000000003058: 822F2F80
	s_load_dword s5, s[46:47], 0x0                             // 00000000305C: C0020157 00000000
	s_mul_i32 s60, s3, 16                                      // 000000003064: 923C9003
	s_mul_i32 s60, 4, s60                                      // 000000003068: 923C3C84
	v_and_b32_e32 v46, 15, v0                                  // 00000000306C: 265C008F
	v_lshlrev_b32_e32 v46, 2, v46                              // 000000003070: 245C5C82
	v_add_u32_e32 v46, s60, v46                                // 000000003074: 685C5C3C
	v_mov_b32_e32 v47, 0                                       // 000000003078: 7E5E0280
	global_load_dword v7, v46, s[44:45]                        // 00000000307C: DC508000 072C002E
	s_mul_i32 s60, s3, 16                                      // 000000003084: 923C9003
	s_lshr_b32 s61, s7, 1                                      // 000000003088: 8F3D8107
	s_mul_i32 s61, s61, 8                                      // 00000000308C: 923D883D
	s_add_u32 s60, s61, s60                                    // 000000003090: 803C3C3D
	s_and_b32 s61, s7, 1                                       // 000000003094: 863D8107
	s_mul_i32 s61, s61, 2                                      // 000000003098: 923D823D
	s_add_u32 s60, s61, s60                                    // 00000000309C: 803C3C3D
	s_mul_i32 s60, 4, s60                                      // 0000000030A0: 923C3C84
	s_add_u32 s44, s60, s44                                    // 0000000030A4: 802C2C3C
	s_addc_u32 s45, 0, s45                                     // 0000000030A8: 822D2D80
	s_load_dword s82, s[44:45], 0x0                            // 0000000030AC: C0021496 00000000
	s_load_dword s83, s[44:45], 0x4                            // 0000000030B4: C00214D6 00000004
	s_load_dword s84, s[44:45], 0x10                           // 0000000030BC: C0021516 00000010
	s_load_dword s85, s[44:45], 0x14                           // 0000000030C4: C0021556 00000014
	s_waitcnt lgkmcnt(0)                                       // 0000000030CC: BF8CC07F
	s_and_b32 s82, s82, 0xffffff                               // 0000000030D0: 8652FF52 00FFFFFF
	s_mul_i32 s62, s82, s68                                    // 0000000030D8: 923E4452
	s_lshl_b32 s60, 0xff, 0                                    // 0000000030DC: 8E3C80FF 000000FF
	s_mov_b32 s61, 0                                           // 0000000030E4: BEBD0080
	s_lshl_b32 s61, 0xff, 0                                    // 0000000030E8: 8E3D80FF 000000FF
	s_mov_b64 exec, s[60:61]                                   // 0000000030F0: BEFE013C
	v_mov_b32_e32 v34, s62                                     // 0000000030F4: 7E44023E
	s_and_b32 s83, s83, 0xffffff                               // 0000000030F8: 8653FF53 00FFFFFF
	s_mul_i32 s62, s83, s68                                    // 000000003100: 923E4453
	s_lshl_b32 s60, 0xff, 8                                    // 000000003104: 8E3C88FF 000000FF
	s_lshl_b32 s61, 0xff, 8                                    // 00000000310C: 8E3D88FF 000000FF
	s_mov_b64 exec, s[60:61]                                   // 000000003114: BEFE013C
	v_mov_b32_e32 v34, s62                                     // 000000003118: 7E44023E
	s_and_b32 s84, s84, 0xffffff                               // 00000000311C: 8654FF54 00FFFFFF
	s_mul_i32 s62, s84, s68                                    // 000000003124: 923E4454
	s_lshl_b32 s60, 0xff, 16                                   // 000000003128: 8E3C90FF 000000FF
	s_lshl_b32 s61, 0xff, 16                                   // 000000003130: 8E3D90FF 000000FF
	s_mov_b64 exec, s[60:61]                                   // 000000003138: BEFE013C
	v_mov_b32_e32 v34, s62                                     // 00000000313C: 7E44023E
	s_and_b32 s85, s85, 0xffffff                               // 000000003140: 8655FF55 00FFFFFF
	s_mul_i32 s62, s85, s68                                    // 000000003148: 923E4455
	s_lshl_b32 s60, 0xff, 24                                   // 00000000314C: 8E3C98FF 000000FF
	s_lshl_b32 s61, 0xff, 24                                   // 000000003154: 8E3D98FF 000000FF
	s_mov_b64 exec, s[60:61]                                   // 00000000315C: BEFE013C
	v_mov_b32_e32 v34, s62                                     // 000000003160: 7E44023E
	s_mov_b32 s60, -1                                          // 000000003164: BEBC00C1
	s_mov_b32 s61, -1                                          // 000000003168: BEBD00C1
	s_mov_b64 exec, s[60:61]                                   // 00000000316C: BEFE013C
	v_and_b32_e64 v46, v0, 7                                   // 000000003170: D113002E 00010F00
	v_lshlrev_b32_e32 v46, 4, v46                              // 000000003178: 245C5C84
	v_add_u32_e32 v34, v34, v46                                // 00000000317C: 68445D22
	s_mov_b32 s62, 0x80                                        // 000000003180: BEBE00FF 00000080
	s_mov_b32 s60, 0                                           // 000000003188: BEBC0080
	s_mov_b32 s61, -1                                          // 00000000318C: BEBD00C1
	s_mov_b64 exec, s[60:61]                                   // 000000003190: BEFE013C
	v_add_u32_e64 v34, v34, s62                                // 000000003194: D1340022 00007D22
	s_mov_b64 exec, -1                                         // 00000000319C: BEFE01C1
	v_lshlrev_b32_e32 v46, 2, v0                               // 0000000031A0: 245C0082
	s_mul_i32 s60, s82, s71                                    // 0000000031A4: 923C4752
	v_add_u32_e64 v80, v46, s60                                // 0000000031A8: D1340050 0000792E
	v_mov_b32_e32 v81, 0                                       // 0000000031B0: 7EA20280
	s_mul_i32 s60, s83, s71                                    // 0000000031B4: 923C4753
	v_add_u32_e64 v82, v46, s60                                // 0000000031B8: D1340052 0000792E
	v_mov_b32_e32 v83, 0                                       // 0000000031C0: 7EA60280
	s_mul_i32 s60, s84, s71                                    // 0000000031C4: 923C4754
	v_add_u32_e64 v84, v46, s60                                // 0000000031C8: D1340054 0000792E
	v_mov_b32_e32 v85, 0                                       // 0000000031D0: 7EAA0280
	s_mul_i32 s60, s85, s71                                    // 0000000031D4: 923C4755
	v_add_u32_e64 v86, v46, s60                                // 0000000031D8: D1340056 0000792E
	v_mov_b32_e32 v87, 0                                       // 0000000031E0: 7EAE0280
	s_mul_i32 s60, s7, 0x420                                   // 0000000031E4: 923CFF07 00000420
	s_add_u32 s50, 0, s60                                      // 0000000031EC: 80323C80
	s_add_u32 s51, 0x1500, s50                                 // 0000000031F0: 803332FF 00001500
	s_add_u32 s52, 0x1500, s51                                 // 0000000031F8: 803433FF 00001500
	v_and_b32_e32 v46, 15, v0                                  // 000000003200: 265C008F
	v_lshrrev_b32_e32 v47, 3, v46                              // 000000003204: 205E5C83
	v_mul_lo_u32 v47, 2, v47                                   // 000000003208: D285002F 00025E82
	v_and_b32_e32 v46, 3, v0                                   // 000000003210: 265C0083
	v_lshrrev_b32_e32 v48, 1, v46                              // 000000003214: 20605C81
	v_add_u32_e32 v46, v47, v48                                // 000000003218: 685C612F
	v_mul_i32_i24_e32 v2, 0x420, v46                           // 00000000321C: 0C045CFF 00000420
	v_and_b32_e32 v46, 7, v0                                   // 000000003224: 265C0087
	v_lshrrev_b32_e32 v47, 2, v46                              // 000000003228: 205E5C82
	v_mul_i32_i24_e32 v47, 0x100, v47                          // 00000000322C: 0C5E5EFF 00000100
	v_and_b32_e32 v46, 1, v0                                   // 000000003234: 265C0081
	v_mul_i32_i24_e32 v48, 0x80, v46                           // 000000003238: 0C605CFF 00000080
	v_add_u32_e32 v2, v47, v2                                  // 000000003240: 6804052F
	v_add_u32_e32 v2, v48, v2                                  // 000000003244: 68040530
	v_lshrrev_b32_e32 v46, 4, v0                               // 000000003248: 205C0084
	v_mul_lo_u32 v46, 16, v46                                  // 00000000324C: D285002E 00025C90
	v_add_u32_e32 v2, v46, v2                                  // 000000003254: 6804052E
	s_mul_i32 s60, s2, 0x80                                    // 000000003258: 923CFF02 00000080
	s_mul_i32 s60, s60, s69                                    // 000000003260: 923C453C
	s_mul_i32 s61, s5, s72                                     // 000000003264: 923D4805
	s_add_u32 s60, s61, s60                                    // 000000003268: 803C3C3D
	s_add_u32 s24, s60, s24                                    // 00000000326C: 8018183C
	s_addc_u32 s25, 0, s25                                     // 000000003270: 82191980
	s_mul_i32 s60, s7, 16                                      // 000000003274: 923C9007
	s_mul_i32 s60, s60, s69                                    // 000000003278: 923C453C
	v_lshlrev_b32_e32 v36, 4, v0                               // 00000000327C: 24480084
	v_add_u32_e32 v36, s60, v36                                // 000000003280: 6848483C
	s_mul_i32 s60, 64, s69                                     // 000000003284: 923C45C0
	v_add_u32_e32 v37, s60, v36                                // 000000003288: 684A483C
	s_mov_b32 s92, s24                                         // 00000000328C: BEDC0018
	s_mov_b32 s93, s25                                         // 000000003290: BEDD0019
	s_mov_b32 s94, s26                                         // 000000003294: BEDE001A
	s_mov_b32 s95, s27                                         // 000000003298: BEDF001B
	s_mul_i32 s60, s69, s65                                    // 00000000329C: 923C4145
	s_add_u32 s92, s60, s92                                    // 0000000032A0: 805C5C3C
	s_addc_u32 s93, 0, s93                                     // 0000000032A4: 825D5D80
	s_mul_i32 s60, s2, 0x800                                   // 0000000032A8: 923CFF02 00000800
	s_mul_i32 s61, s5, s73                                     // 0000000032B0: 923D4905
	s_add_u32 s60, s61, s60                                    // 0000000032B4: 803C3C3D
	s_add_u32 s12, s60, s12                                    // 0000000032B8: 800C0C3C
	s_addc_u32 s13, 0, s13                                     // 0000000032BC: 820D0D80
	s_mul_i32 s60, s7, 16                                      // 0000000032C0: 923C9007
	s_mul_i32 s60, s60, s70                                    // 0000000032C4: 923C463C
	v_lshlrev_b32_e32 v38, 4, v0                               // 0000000032C8: 244C0084
	v_add_u32_e32 v38, s60, v38                                // 0000000032CC: 684C4C3C
	s_mul_i32 s60, 64, s70                                     // 0000000032D0: 923C46C0
	v_add_u32_e32 v39, s60, v38                                // 0000000032D4: 684E4C3C
	v_add_u32_e32 v40, s60, v39                                // 0000000032D8: 68504E3C
	v_add_u32_e32 v41, s60, v40                                // 0000000032DC: 6852503C
	s_mul_i32 s60, s70, 0x100                                  // 0000000032E0: 923CFF46 00000100
	s_mov_b32 s78, 0x800                                       // 0000000032E8: BECE00FF 00000800
	s_mul_i32 s61, s78, 0                                      // 0000000032F0: 923D804E
	s_sub_u32 s56, s60, s61                                    // 0000000032F4: 80B83D3C
	s_mul_i32 s60, s3, 16                                      // 0000000032F8: 923C9003
	s_mul_i32 s60, 4, s60                                      // 0000000032FC: 923C3C84
	s_add_u32 s40, s60, s40                                    // 000000003300: 8028283C
	s_addc_u32 s41, 0, s41                                     // 000000003304: 82292980
	v_and_b32_e32 v46, 15, v0                                  // 000000003308: 265C008F
	v_lshlrev_b32_e32 v9, 2, v46                               // 00000000330C: 24125C82
	v_add_u32_e32 v10, 64, v9                                  // 000000003310: 681412C0
	s_lshr_b32 s60, s64, 7                                     // 000000003314: 8F3C8740
	s_mul_i32 s61, s60, 4                                      // 000000003318: 923D843C
	v_and_b32_e64 v11, v0, 0                                   // 00000000331C: D113000B 00010100
	v_mul_lo_u32 v11, v11, s61                                 // 000000003324: D285000B 00007B0B
	v_and_b32_e64 v46, v0, 3                                   // 00000000332C: D113002E 00010700
	v_lshrrev_b32_e32 v46, 1, v46                              // 000000003334: 205C5C81
	v_mul_lo_u32 v46, 4, v46                                   // 000000003338: D285002E 00025C84
	v_add_u32_e32 v11, v11, v46                                // 000000003340: 68165D0B
	s_lshr_b32 s60, s65, 7                                     // 000000003344: 8F3C8741
	s_mul_i32 s60, s60, s61                                    // 000000003348: 923C3D3C
	v_add_u32_e64 v13, v11, s60                                // 00000000334C: D134000D 0000790B
	s_mov_b32 s4, 8                                            // 000000003354: BE840088
	s_mul_i32 s60, s2, 1                                       // 000000003358: 923C8102
	s_mul_i32 s60, s60, s61                                    // 00000000335C: 923C3D3C
	s_mul_i32 s61, s5, s74                                     // 000000003360: 923D4A05
	s_add_u32 s61, s61, s60                                    // 000000003364: 803D3C3D
	s_add_u32 s32, s61, s32                                    // 000000003368: 8020203D
	s_addc_u32 s33, 0, s33                                     // 00000000336C: 82212180
	s_lshr_b32 s60, s65, 7                                     // 000000003370: 8F3C8741
	s_mul_i32 s61, s60, 4                                      // 000000003374: 923D843C
	s_mul_i32 s60, s2, 1                                       // 000000003378: 923C8102
	s_mul_i32 s60, s60, 4                                      // 00000000337C: 923C843C
	v_and_b32_e64 v6, v0, 1                                    // 000000003380: D1130006 00010300
	v_mul_lo_u32 v6, v6, s61                                   // 000000003388: D2850006 00007B06
	v_and_b32_e64 v46, v0, 1                                   // 000000003390: D113002E 00010300
	v_lshrrev_b32_e32 v46, 1, v46                              // 000000003398: 205C5C81
	v_mul_lo_u32 v46, 4, v46                                   // 00000000339C: D285002E 00025C84
	v_add_i32 v6, v6, v46                                      // 0000000033A4: D29C0006 00025D06
	v_add_i32 v6, v6, s60                                      // 0000000033AC: D29C0006 00007906
	s_mul_i32 s60, s5, s75                                     // 0000000033B4: 923C4B05
	s_add_u32 s16, s60, s16                                    // 0000000033B8: 8010103C
	s_addc_u32 s17, 0, s17                                     // 0000000033BC: 82111180
	s_mov_b32 s57, 0x100                                       // 0000000033C0: BEB900FF 00000100
	s_mov_b32 s58, 0x1000                                      // 0000000033C8: BEBA00FF 00001000
	s_mul_i32 s79, 2, s61                                      // 0000000033D0: 924F3D82
	s_mov_b32 s59, 0                                           // 0000000033D4: BEBB0080
	s_mov_b32 s90, s58                                         // 0000000033D8: BEDA003A
	s_mov_b32 s53, 0x7060302                                   // 0000000033DC: BEB500FF 07060302
	s_mov_b32 s54, 0x400                                       // 0000000033E4: BEB600FF 00000400
	s_mov_b32 s55, 0x40100                                     // 0000000033EC: BEB700FF 00040100
	s_mov_b32 s63, 0x4020100                                   // 0000000033F4: BEBF00FF 04020100
	s_mov_b32 s6, 0x3fb8aa3b                                   // 0000000033FC: BE8600FF 3FB8AA3B
	s_mov_b32 s77, 0xbd92220c                                  // 000000003404: BECD00FF BD92220C
	s_mov_b32 m0, s50                                          // 00000000340C: BEFC0032
	v_mov_b32_e32 v1, 0xbfcc4231                               // 000000003410: 7E0202FF BFCC4231
	v_mov_b32_e32 v43, 0xffff0000                              // 000000003418: 7E5602FF FFFF0000
	v_mov_b32_e32 v44, 0x7fff0000                              // 000000003420: 7E5802FF 7FFF0000
	v_mov_b32_e32 v45, 0x7fff                                  // 000000003428: 7E5A02FF 00007FFF
	s_waitcnt vmcnt(0) expcnt(0) lgkmcnt(0)                    // 000000003430: BF8C0000
	v_and_b32_e32 v7, 0xffffff, v7                             // 000000003434: 260E0EFF 00FFFFFF
	v_and_b32_e32 v8, 0xffffff, v8                             // 00000000343C: 261010FF 00FFFFFF
	v_lshlrev_b32_e32 v7, 2, v7                                // 000000003444: 240E0E82
	v_lshlrev_b32_e32 v8, 2, v8                                // 000000003448: 24101082
	s_and_b32 s60, s7, 1                                       // 00000000344C: 863C8107
	s_lshl_b32 s3, s66, 2                                      // 000000003450: 8E038242
	s_mul_i32 s60, s60, s3                                     // 000000003454: 923C033C
	s_add_u32 s28, s28, s60                                    // 000000003458: 801C3C1C
	s_addc_u32 s29, 0, s29                                     // 00000000345C: 821D1D80
	s_mov_b32 s30, s3                                          // 000000003460: BE9E0003
	s_lshl_b32 s3, s3, 1                                       // 000000003464: 8E038103
	s_lshr_b32 s61, s7, 1                                      // 000000003468: 8F3D8107
	s_cmp_eq_u32 s61, 1                                        // 00000000346C: BF06813D
	s_cselect_b32 s60, 0, 1                                    // 000000003470: 853C8180
	v_mul_lo_u32 v46, v7, s60                                  // 000000003474: D285002E 00007907
	v_mul_lo_u32 v47, v8, s61                                  // 00000000347C: D285002F 00007B08
	v_add_u32_e32 v46, v46, v47                                // 000000003484: 685C5F2E
	v_mov_b32_e32 v7, v46                                      // 000000003488: 7E0E032E
	s_mul_i32 s60, s7, 0x100                                   // 00000000348C: 923CFF07 00000100
	s_sub_u32 s61, 4, s7                                       // 000000003494: 80BD0784
	s_mul_i32 s61, s61, 0x420                                  // 000000003498: 923DFF3D 00000420
	s_add_u32 s76, s60, s61                                    // 0000000034A0: 804C3D3C
	s_add_u32 s76, 0x80, s76                                   // 0000000034A4: 804C4CFF 00000080
	v_lshlrev_b32_e32 v3, 2, v0                                // 0000000034AC: 24060082
	buffer_load_dword v27, v9, s[40:43], 0 offen               // 0000000034B0: E0501000 800A1B09
	buffer_load_dword v28, v10, s[40:43], 0 offen              // 0000000034B8: E0501000 800A1C0A
	buffer_load_dwordx4 v34, s[20:23], 0 offen lds             // 0000000034C0: E05D1000 80050022
	s_add_u32 m0, m0, s76                                      // 0000000034C8: 807C4C7C
	buffer_load_dword v7, s[28:31], 0 offen lds                // 0000000034CC: E0511000 80070007
	s_add_u32 m0, 0, s51                                       // 0000000034D4: 807C3380
	s_add_u32 s20, s57, s20                                    // 0000000034D8: 80141439
	s_addc_u32 s21, 0, s21                                     // 0000000034DC: 82151580
	s_add_u32 s28, s3, s28                                     // 0000000034E0: 801C1C03
	s_addc_u32 s29, 0, s29                                     // 0000000034E4: 821D1D80
	buffer_load_dword v21, v11, s[32:35], 0 offen              // 0000000034E8: E0501000 8008150B
	buffer_load_dword v24, v13, s[32:35], 0 offen              // 0000000034F0: E0501000 8008180D
	s_add_u32 s60, 0x100, s80                                  // 0000000034F8: 803C50FF 00000100
	s_cmp_lt_u32 s60, s81                                      // 000000003500: BF0A513C
	s_cselect_b32 s4, s4, 0                                    // 000000003504: 85048004
	s_add_u32 s32, s4, s32                                     // 000000003508: 80202004
	s_addc_u32 s33, 0, s33                                     // 00000000350C: 82212180
	buffer_load_dwordx4 a[0:3], v36, s[24:27], 0 offen         // 000000003510: E05C1000 80860024
	buffer_load_dwordx4 a[4:7], v36, s[24:27], 0 offen offset:1024// 000000003518: E05C1400 80860424
	buffer_load_dwordx4 a[8:11], v37, s[24:27], 0 offen        // 000000003520: E05C1000 80860825
	buffer_load_dwordx4 a[12:15], v37, s[24:27], 0 offen offset:1024// 000000003528: E05C1400 80860C25
	buffer_load_dwordx4 a[16:19], v36, s[24:27], 0 offen offset:2048// 000000003530: E05C1800 80861024
	buffer_load_dwordx4 a[20:23], v36, s[24:27], 0 offen offset:3072// 000000003538: E05C1C00 80861424
	buffer_load_dwordx4 a[24:27], v37, s[24:27], 0 offen offset:2048// 000000003540: E05C1800 80861825
	buffer_load_dwordx4 a[28:31], v37, s[24:27], 0 offen offset:3072// 000000003548: E05C1C00 80861C25
	buffer_load_dwordx4 a[32:35], v36, s[92:95], 0 offen       // 000000003550: E05C1000 80972024
	buffer_load_dwordx4 a[36:39], v36, s[92:95], 0 offen offset:1024// 000000003558: E05C1400 80972424
	buffer_load_dwordx4 a[40:43], v37, s[92:95], 0 offen       // 000000003560: E05C1000 80972825
	buffer_load_dwordx4 a[44:47], v37, s[92:95], 0 offen offset:1024// 000000003568: E05C1400 80972C25
	buffer_load_dwordx4 a[48:51], v36, s[92:95], 0 offen offset:2048// 000000003570: E05C1800 80973024
	buffer_load_dwordx4 a[52:55], v36, s[92:95], 0 offen offset:3072// 000000003578: E05C1C00 80973424
	buffer_load_dwordx4 a[56:59], v37, s[92:95], 0 offen offset:2048// 000000003580: E05C1800 80973825
	buffer_load_dwordx4 a[60:63], v37, s[92:95], 0 offen offset:3072// 000000003588: E05C1C00 80973C25
	s_add_u32 s24, s58, s24                                    // 000000003590: 8018183A
	s_addc_u32 s25, 0, s25                                     // 000000003594: 82191980
	s_add_u32 s92, s90, s92                                    // 000000003598: 805C5C5A
	s_addc_u32 s93, 0, s93                                     // 00000000359C: 825D5D80
	buffer_load_dwordx4 v34, s[20:23], 0 offen lds             // 0000000035A0: E05D1000 80050022
	s_add_u32 m0, m0, s76                                      // 0000000035A8: 807C4C7C
	buffer_load_dword v7, s[28:31], 0 offen lds                // 0000000035AC: E0511000 80070007
	s_add_u32 m0, 0, s52                                       // 0000000035B4: 807C3480
	s_add_u32 s60, 0x200, s80                                  // 0000000035B8: 803C50FF 00000200
	s_cmp_lt_u32 s60, s81                                      // 0000000035C0: BF0A513C
	s_cselect_b32 s57, s57, 0                                  // 0000000035C4: 85398039
	s_cselect_b32 s3, s3, 0                                    // 0000000035C8: 85038003
	s_add_u32 s20, s57, s20                                    // 0000000035CC: 80141439
	s_addc_u32 s21, 0, s21                                     // 0000000035D0: 82151580
	s_add_u32 s28, s3, s28                                     // 0000000035D4: 801C1C03
	s_addc_u32 s29, 0, s29                                     // 0000000035D8: 821D1D80
	buffer_load_dword v22, v11, s[32:35], 0 offen              // 0000000035DC: E0501000 8008160B
	buffer_load_dword v25, v13, s[32:35], 0 offen              // 0000000035E4: E0501000 8008190D
	s_add_u32 s60, 0x200, s80                                  // 0000000035EC: 803C50FF 00000200
	s_cmp_lt_u32 s60, s81                                      // 0000000035F4: BF0A513C
	s_cselect_b32 s4, s4, 0                                    // 0000000035F8: 85048004
	s_add_u32 s32, s4, s32                                     // 0000000035FC: 80202004
	s_addc_u32 s33, 0, s33                                     // 000000003600: 82212180
	buffer_load_dwordx4 a[64:67], v36, s[24:27], 0 offen       // 000000003604: E05C1000 80864024
	buffer_load_dwordx4 a[68:71], v36, s[24:27], 0 offen offset:1024// 00000000360C: E05C1400 80864424
	buffer_load_dwordx4 a[72:75], v37, s[24:27], 0 offen       // 000000003614: E05C1000 80864825
	buffer_load_dwordx4 a[76:79], v37, s[24:27], 0 offen offset:1024// 00000000361C: E05C1400 80864C25
	buffer_load_dwordx4 a[80:83], v36, s[24:27], 0 offen offset:2048// 000000003624: E05C1800 80865024
	buffer_load_dwordx4 a[84:87], v36, s[24:27], 0 offen offset:3072// 00000000362C: E05C1C00 80865424
	buffer_load_dwordx4 a[88:91], v37, s[24:27], 0 offen offset:2048// 000000003634: E05C1800 80865825
	buffer_load_dwordx4 a[92:95], v37, s[24:27], 0 offen offset:3072// 00000000363C: E05C1C00 80865C25
	buffer_load_dwordx4 a[96:99], v36, s[92:95], 0 offen       // 000000003644: E05C1000 80976024
	buffer_load_dwordx4 a[100:103], v36, s[92:95], 0 offen offset:1024// 00000000364C: E05C1400 80976424
	buffer_load_dwordx4 a[104:107], v37, s[92:95], 0 offen     // 000000003654: E05C1000 80976825
	buffer_load_dwordx4 a[108:111], v37, s[92:95], 0 offen offset:1024// 00000000365C: E05C1400 80976C25
	buffer_load_dwordx4 a[112:115], v36, s[92:95], 0 offen offset:2048// 000000003664: E05C1800 80977024
	buffer_load_dwordx4 a[116:119], v36, s[92:95], 0 offen offset:3072// 00000000366C: E05C1C00 80977424
	buffer_load_dwordx4 a[120:123], v37, s[92:95], 0 offen offset:2048// 000000003674: E05C1800 80977825
	buffer_load_dwordx4 a[124:127], v37, s[92:95], 0 offen offset:3072// 00000000367C: E05C1C00 80977C25
	s_add_u32 s60, 0x200, s80                                  // 000000003684: 803C50FF 00000200
	s_cmp_lt_u32 s60, s81                                      // 00000000368C: BF0A513C
	s_cselect_b32 s58, s58, 0                                  // 000000003690: 853A803A
	s_cselect_b32 s90, s90, 0                                  // 000000003694: 855A805A
	s_add_u32 s24, s58, s24                                    // 000000003698: 8018183A
	s_addc_u32 s25, 0, s25                                     // 00000000369C: 82191980
	s_add_u32 s92, s90, s92                                    // 0000000036A0: 805C5C5A
	s_addc_u32 s93, 0, s93                                     // 0000000036A4: 825D5D80
	v_mov_b32_e32 v96, 0                                       // 0000000036A8: 7EC00280
	v_mov_b32_e32 v64, 0                                       // 0000000036AC: 7E800280
	v_mov_b32_e32 v97, 0                                       // 0000000036B0: 7EC20280
	v_mov_b32_e32 v65, 0                                       // 0000000036B4: 7E820280
	v_mov_b32_e32 v98, 0                                       // 0000000036B8: 7EC40280
	v_mov_b32_e32 v66, 0                                       // 0000000036BC: 7E840280
	v_mov_b32_e32 v99, 0                                       // 0000000036C0: 7EC60280
	v_mov_b32_e32 v67, 0                                       // 0000000036C4: 7E860280
	v_mov_b32_e32 v100, 0                                      // 0000000036C8: 7EC80280
	v_mov_b32_e32 v68, 0                                       // 0000000036CC: 7E880280
	v_mov_b32_e32 v101, 0                                      // 0000000036D0: 7ECA0280
	v_mov_b32_e32 v69, 0                                       // 0000000036D4: 7E8A0280
	v_mov_b32_e32 v102, 0                                      // 0000000036D8: 7ECC0280
	v_mov_b32_e32 v70, 0                                       // 0000000036DC: 7E8C0280
	v_mov_b32_e32 v103, 0                                      // 0000000036E0: 7ECE0280
	v_mov_b32_e32 v71, 0                                       // 0000000036E4: 7E8E0280
	v_mov_b32_e32 v104, 0                                      // 0000000036E8: 7ED00280
	v_mov_b32_e32 v72, 0                                       // 0000000036EC: 7E900280
	v_mov_b32_e32 v105, 0                                      // 0000000036F0: 7ED20280
	v_mov_b32_e32 v73, 0                                       // 0000000036F4: 7E920280
	v_mov_b32_e32 v106, 0                                      // 0000000036F8: 7ED40280
	v_mov_b32_e32 v74, 0                                       // 0000000036FC: 7E940280
	v_mov_b32_e32 v107, 0                                      // 000000003700: 7ED60280
	v_mov_b32_e32 v75, 0                                       // 000000003704: 7E960280
	v_mov_b32_e32 v108, 0                                      // 000000003708: 7ED80280
	v_mov_b32_e32 v76, 0                                       // 00000000370C: 7E980280
	v_mov_b32_e32 v109, 0                                      // 000000003710: 7EDA0280
	v_mov_b32_e32 v77, 0                                       // 000000003714: 7E9A0280
	v_mov_b32_e32 v110, 0                                      // 000000003718: 7EDC0280
	v_mov_b32_e32 v78, 0                                       // 00000000371C: 7E9C0280
	v_mov_b32_e32 v111, 0                                      // 000000003720: 7EDE0280
	v_mov_b32_e32 v79, 0                                       // 000000003724: 7E9E0280
	v_lshrrev_b32_e32 v46, 4, v0                               // 000000003728: 205C0084
	v_mul_lo_u32 v4, 34, v46                                   // 00000000372C: D2850004 00025CA2
	v_and_b32_e32 v46, 15, v0                                  // 000000003734: 265C008F
	v_mul_lo_u32 v47, 2, v46                                   // 000000003738: D285002F 00025C82
	v_add_u32_e32 v4, v47, v4                                  // 000000003740: 6808092F
	s_mul_i32 s60, s7, 0x88                                    // 000000003744: 923CFF07 00000088
	v_add_u32_e32 v4, s60, v4                                  // 00000000374C: 6808083C
	v_lshlrev_b32_e32 v4, 2, v4                                // 000000003750: 24080882
	v_lshrrev_b32_e32 v46, 1, v0                               // 000000003754: 205C0081
	v_mul_lo_u32 v5, 34, v46                                   // 000000003758: D2850005 00025CA2
	v_and_b32_e32 v47, 1, v0                                   // 000000003760: 265E0081
	v_add_u32_e32 v5, v47, v5                                  // 000000003764: 680A0B2F
	s_mov_b32 s60, 0                                           // 000000003768: BEBC0080
	s_lshr_b32 s61, s7, 1                                      // 00000000376C: 8F3D8107
	s_mul_i32 s61, s61, 8                                      // 000000003770: 923D883D
	s_add_u32 s60, s61, s60                                    // 000000003774: 803C3C3D
	s_and_b32 s61, s7, 1                                       // 000000003778: 863D8107
	s_mul_i32 s61, s61, 2                                      // 00000000377C: 923D823D
	s_add_u32 s60, s61, s60                                    // 000000003780: 803C3C3D
	s_mul_i32 s60, 2, s60                                      // 000000003784: 923C3C82
	v_add_u32_e32 v5, s60, v5                                  // 000000003788: 680A0A3C
	v_lshlrev_b32_e32 v5, 2, v5                                // 00000000378C: 240A0A82
	s_waitcnt vmcnt(38)                                        // 000000003790: BF8C8F76
	s_barrier                                                  // 000000003794: BF8A0000
	ds_read_b128 v[112:115], v2                                // 000000003798: D9FE0000 70000002
	ds_read_b128 v[116:119], v2 offset:64                      // 0000000037A0: D9FE0040 74000002
	ds_read_b128 v[120:123], v2 offset:512                     // 0000000037A8: D9FE0200 78000002
	ds_read_b128 v[124:127], v2 offset:576                     // 0000000037B0: D9FE0240 7C000002
	ds_read_b32 v15, v3 offset:4352                            // 0000000037B8: D86C1100 0F000003
	ds_read_b32 v16, v3 offset:4608                            // 0000000037C0: D86C1200 10000003
	ds_read_b32 v17, v3 offset:4864                            // 0000000037C8: D86C1300 11000003
	ds_read_b32 v18, v3 offset:5120                            // 0000000037D0: D86C1400 12000003
	s_cmp_lt_i32 s7, 2                                         // 0000000037D8: BF048207
	s_cbranch_scc0 label_095F                                  // 0000000037DC: BF8406E7

00000000000037e0 <label_0278>:
	s_waitcnt vmcnt(34) lgkmcnt(0)                             // 0000000037E0: BF8C8072
	s_barrier                                                  // 0000000037E4: BF8A0000
	v_mfma_f32_16x16x128_f8f6f4 v[104:107], a[0:7], v[112:119], 0// 0000000037E8: D3AD0068 0A02E100
	s_waitcnt vmcnt(26)                                        // 0000000037F0: BF8C4F7A
	v_mfma_f32_16x16x128_f8f6f4 v[108:111], a[8:15], v[112:119], 0// 0000000037F4: D3AD006C 0A02E108
	buffer_load_dwordx4 v34, s[20:23], 0 offen lds             // 0000000037FC: E05D1000 80050022
	s_add_u32 m0, m0, s76                                      // 000000003804: 807C4C7C
	buffer_load_dword v7, s[28:31], 0 offen lds                // 000000003808: E0511000 80070007
	s_add_u32 m0, 0, s50                                       // 000000003810: 807C3280
	buffer_load_dword v23, v11, s[32:35], 0 offen              // 000000003814: E0501000 8008170B
	buffer_load_dword v26, v13, s[32:35], 0 offen              // 00000000381C: E0501000 80081A0D
	buffer_load_dwordx4 a[128:131], v36, s[24:27], 0 offen     // 000000003824: E05C1000 80868024
	buffer_load_dwordx4 a[132:135], v36, s[24:27], 0 offen offset:1024// 00000000382C: E05C1400 80868424
	buffer_load_dwordx4 a[136:139], v37, s[24:27], 0 offen     // 000000003834: E05C1000 80868825
	buffer_load_dwordx4 a[140:143], v37, s[24:27], 0 offen offset:1024// 00000000383C: E05C1400 80868C25
	v_mul_f32_dpp v46, v21, v15 row_newbcast:0 row_mask:0xf bank_mask:0xf// 000000003844: 0A5C1EFA FF015015
	v_mov_b32_e32 v47, v46                                     // 00000000384C: 7E5E032E
	v_pk_fma_f32 v[96:97], v[104:105], v[46:47], v[96:97]      // 000000003850: D3B04060 1D825D68
	v_pk_fma_f32 v[98:99], v[106:107], v[46:47], v[98:99]      // 000000003858: D3B04062 1D8A5D6A
	v_pk_fma_f32 v[100:101], v[108:109], v[46:47], v[100:101]  // 000000003860: D3B04064 1D925D6C
	v_pk_fma_f32 v[102:103], v[110:111], v[46:47], v[102:103]  // 000000003868: D3B04066 1D9A5D6E
	s_waitcnt vmcnt(32)                                        // 000000003870: BF8C8F70
	v_mfma_f32_16x16x128_f8f6f4 v[104:107], a[16:23], v[120:127], 0// 000000003874: D3AD0068 0A02F110
	s_waitcnt vmcnt(30)                                        // 00000000387C: BF8C4F7E
	v_mfma_f32_16x16x128_f8f6f4 v[108:111], a[24:31], v[120:127], 0// 000000003880: D3AD006C 0A02F118
	buffer_load_dwordx4 a[144:147], v36, s[24:27], 0 offen offset:2048// 000000003888: E05C1800 80869024
	buffer_load_dwordx4 a[148:151], v36, s[24:27], 0 offen offset:3072// 000000003890: E05C1C00 80869424
	buffer_load_dwordx4 a[152:155], v37, s[24:27], 0 offen offset:2048// 000000003898: E05C1800 80869825
	buffer_load_dwordx4 a[156:159], v37, s[24:27], 0 offen offset:3072// 0000000038A0: E05C1C00 80869C25
	v_mul_f32_dpp v46, v21, v16 row_newbcast:2 row_mask:0xf bank_mask:0xf// 0000000038A8: 0A5C20FA FF015215
	v_mov_b32_e32 v47, v46                                     // 0000000038B0: 7E5E032E
	v_pk_fma_f32 v[96:97], v[104:105], v[46:47], v[96:97]      // 0000000038B4: D3B04060 1D825D68
	v_pk_fma_f32 v[98:99], v[106:107], v[46:47], v[98:99]      // 0000000038BC: D3B04062 1D8A5D6A
	v_pk_fma_f32 v[100:101], v[108:109], v[46:47], v[100:101]  // 0000000038C4: D3B04064 1D925D6C
	v_pk_fma_f32 v[102:103], v[110:111], v[46:47], v[102:103]  // 0000000038CC: D3B04066 1D9A5D6E
	s_add_u32 s60, 0x300, s80                                  // 0000000038D4: 803C50FF 00000300
	s_cmp_lt_u32 s60, s81                                      // 0000000038DC: BF0A513C
	s_cselect_b32 s4, s4, 0                                    // 0000000038E0: 85048004
	s_add_u32 s32, s4, s32                                     // 0000000038E4: 80202004
	s_addc_u32 s33, 0, s33                                     // 0000000038E8: 82212180
	s_waitcnt vmcnt(20)                                        // 0000000038EC: BF8C4F74
	s_barrier                                                  // 0000000038F0: BF8A0000
	v_mfma_f32_16x16x128_f8f6f4 v[104:107], a[32:39], v[112:119], 0// 0000000038F4: D3AD0068 0A02E120
	s_waitcnt vmcnt(20)                                        // 0000000038FC: BF8C4F74
	v_mfma_f32_16x16x128_f8f6f4 v[108:111], a[40:47], v[112:119], 0// 000000003900: D3AD006C 0A02E128
	buffer_load_dwordx4 a[160:163], v36, s[92:95], 0 offen     // 000000003908: E05C1000 8097A024
	buffer_load_dwordx4 a[164:167], v36, s[92:95], 0 offen offset:1024// 000000003910: E05C1400 8097A424
	buffer_load_dwordx4 a[168:171], v37, s[92:95], 0 offen     // 000000003918: E05C1000 8097A825
	buffer_load_dwordx4 a[172:175], v37, s[92:95], 0 offen offset:1024// 000000003920: E05C1400 8097AC25
	v_mul_f32_dpp v46, v24, v15 row_newbcast:0 row_mask:0xf bank_mask:0xf// 000000003928: 0A5C1EFA FF015018
	v_mov_b32_e32 v47, v46                                     // 000000003930: 7E5E032E
	v_pk_fma_f32 v[64:65], v[104:105], v[46:47], v[64:65]      // 000000003934: D3B04040 1D025D68
	v_pk_fma_f32 v[66:67], v[106:107], v[46:47], v[66:67]      // 00000000393C: D3B04042 1D0A5D6A
	v_pk_fma_f32 v[68:69], v[108:109], v[46:47], v[68:69]      // 000000003944: D3B04044 1D125D6C
	v_pk_fma_f32 v[70:71], v[110:111], v[46:47], v[70:71]      // 00000000394C: D3B04046 1D1A5D6E
	s_waitcnt vmcnt(22)                                        // 000000003954: BF8C4F76
	v_mfma_f32_16x16x128_f8f6f4 v[104:107], a[48:55], v[120:127], 0// 000000003958: D3AD0068 0A02F130
	ds_read_b128 v[128:131], v2 offset:5376                    // 000000003960: D9FE1500 80000002
	ds_read_b128 v[132:135], v2 offset:5440                    // 000000003968: D9FE1540 84000002
	ds_read_b128 v[136:139], v2 offset:5888                    // 000000003970: D9FE1700 88000002
	ds_read_b128 v[140:143], v2 offset:5952                    // 000000003978: D9FE1740 8C000002
	ds_read_b32 v17, v3 offset:9728                            // 000000003980: D86C2600 11000003
	ds_read_b32 v18, v3 offset:9984                            // 000000003988: D86C2700 12000003
	s_waitcnt vmcnt(20)                                        // 000000003990: BF8C4F74
	v_mfma_f32_16x16x128_f8f6f4 v[108:111], a[56:63], v[120:127], 0// 000000003994: D3AD006C 0A02F138
	buffer_load_dwordx4 a[176:179], v36, s[92:95], 0 offen offset:2048// 00000000399C: E05C1800 8097B024
	buffer_load_dwordx4 a[180:183], v36, s[92:95], 0 offen offset:3072// 0000000039A4: E05C1C00 8097B424
	buffer_load_dwordx4 a[184:187], v37, s[92:95], 0 offen offset:2048// 0000000039AC: E05C1800 8097B825
	buffer_load_dwordx4 a[188:191], v37, s[92:95], 0 offen offset:3072// 0000000039B4: E05C1C00 8097BC25
	v_mul_f32_dpp v46, v24, v16 row_newbcast:2 row_mask:0xf bank_mask:0xf// 0000000039BC: 0A5C20FA FF015218
	v_mov_b32_e32 v47, v46                                     // 0000000039C4: 7E5E032E
	v_pk_fma_f32 v[64:65], v[104:105], v[46:47], v[64:65]      // 0000000039C8: D3B04040 1D025D68
	v_pk_fma_f32 v[66:67], v[106:107], v[46:47], v[66:67]      // 0000000039D0: D3B04042 1D0A5D6A
	v_pk_fma_f32 v[68:69], v[108:109], v[46:47], v[68:69]      // 0000000039D8: D3B04044 1D125D6C
	v_pk_fma_f32 v[70:71], v[110:111], v[46:47], v[70:71]      // 0000000039E0: D3B04046 1D1A5D6E
	s_add_u32 s60, 0x300, s80                                  // 0000000039E8: 803C50FF 00000300
	s_cmp_lt_u32 s60, s81                                      // 0000000039F0: BF0A513C
	s_cselect_b32 s57, s57, 0                                  // 0000000039F4: 85398039
	s_cselect_b32 s3, s3, 0                                    // 0000000039F8: 85038003
	s_add_u32 s60, 0x300, s80                                  // 0000000039FC: 803C50FF 00000300
	s_cmp_lt_u32 s60, s81                                      // 000000003A04: BF0A513C
	s_cselect_b32 s58, s58, 0                                  // 000000003A08: 853A803A
	s_cselect_b32 s90, s90, 0                                  // 000000003A0C: 855A805A
	s_add_u32 s20, s57, s20                                    // 000000003A10: 80141439
	s_addc_u32 s21, 0, s21                                     // 000000003A14: 82151580
	s_add_u32 s28, s3, s28                                     // 000000003A18: 801C1C03
	s_addc_u32 s29, 0, s29                                     // 000000003A1C: 821D1D80
	s_add_u32 s24, s58, s24                                    // 000000003A20: 8018183A
	s_addc_u32 s25, 0, s25                                     // 000000003A24: 82191980
	s_add_u32 s92, s90, s92                                    // 000000003A28: 805C5C5A
	s_addc_u32 s93, 0, s93                                     // 000000003A2C: 825D5D80
	s_addk_i32 s80, 0x100                                      // 000000003A30: B7500100
	s_cmp_lt_i32 s80, s81                                      // 000000003A34: BF045150
	s_cbranch_scc0 label_043E                                  // 000000003A38: BF84012F
	s_waitcnt vmcnt(34) lgkmcnt(0)                             // 000000003A3C: BF8C8072
	s_barrier                                                  // 000000003A40: BF8A0000
	v_mfma_f32_16x16x128_f8f6f4 v[104:107], a[64:71], v[128:135], 0// 000000003A44: D3AD0068 0A030140
	s_waitcnt vmcnt(26)                                        // 000000003A4C: BF8C4F7A
	v_mfma_f32_16x16x128_f8f6f4 v[108:111], a[72:79], v[128:135], 0// 000000003A50: D3AD006C 0A030148
	buffer_load_dwordx4 v34, s[20:23], 0 offen lds             // 000000003A58: E05D1000 80050022
	s_add_u32 m0, m0, s76                                      // 000000003A60: 807C4C7C
	buffer_load_dword v7, s[28:31], 0 offen lds                // 000000003A64: E0511000 80070007
	s_add_u32 m0, 0, s51                                       // 000000003A6C: 807C3380
	buffer_load_dword v21, v11, s[32:35], 0 offen              // 000000003A70: E0501000 8008150B
	buffer_load_dword v24, v13, s[32:35], 0 offen              // 000000003A78: E0501000 8008180D
	buffer_load_dwordx4 a[0:3], v36, s[24:27], 0 offen         // 000000003A80: E05C1000 80860024
	buffer_load_dwordx4 a[4:7], v36, s[24:27], 0 offen offset:1024// 000000003A88: E05C1400 80860424
	buffer_load_dwordx4 a[8:11], v37, s[24:27], 0 offen        // 000000003A90: E05C1000 80860825
	buffer_load_dwordx4 a[12:15], v37, s[24:27], 0 offen offset:1024// 000000003A98: E05C1400 80860C25
	v_mul_f32_dpp v46, v22, v17 row_newbcast:0 row_mask:0xf bank_mask:0xf// 000000003AA0: 0A5C22FA FF015016
	v_mov_b32_e32 v47, v46                                     // 000000003AA8: 7E5E032E
	v_pk_fma_f32 v[96:97], v[104:105], v[46:47], v[96:97]      // 000000003AAC: D3B04060 1D825D68
	v_pk_fma_f32 v[98:99], v[106:107], v[46:47], v[98:99]      // 000000003AB4: D3B04062 1D8A5D6A
	v_pk_fma_f32 v[100:101], v[108:109], v[46:47], v[100:101]  // 000000003ABC: D3B04064 1D925D6C
	v_pk_fma_f32 v[102:103], v[110:111], v[46:47], v[102:103]  // 000000003AC4: D3B04066 1D9A5D6E
	s_waitcnt vmcnt(32)                                        // 000000003ACC: BF8C8F70
	v_mfma_f32_16x16x128_f8f6f4 v[104:107], a[80:87], v[136:143], 0// 000000003AD0: D3AD0068 0A031150
	s_waitcnt vmcnt(30)                                        // 000000003AD8: BF8C4F7E
	v_mfma_f32_16x16x128_f8f6f4 v[108:111], a[88:95], v[136:143], 0// 000000003ADC: D3AD006C 0A031158
	buffer_load_dwordx4 a[16:19], v36, s[24:27], 0 offen offset:2048// 000000003AE4: E05C1800 80861024
	buffer_load_dwordx4 a[20:23], v36, s[24:27], 0 offen offset:3072// 000000003AEC: E05C1C00 80861424
	buffer_load_dwordx4 a[24:27], v37, s[24:27], 0 offen offset:2048// 000000003AF4: E05C1800 80861825
	buffer_load_dwordx4 a[28:31], v37, s[24:27], 0 offen offset:3072// 000000003AFC: E05C1C00 80861C25
	v_mul_f32_dpp v46, v22, v18 row_newbcast:2 row_mask:0xf bank_mask:0xf// 000000003B04: 0A5C24FA FF015216
	v_mov_b32_e32 v47, v46                                     // 000000003B0C: 7E5E032E
	v_pk_fma_f32 v[96:97], v[104:105], v[46:47], v[96:97]      // 000000003B10: D3B04060 1D825D68
	v_pk_fma_f32 v[98:99], v[106:107], v[46:47], v[98:99]      // 000000003B18: D3B04062 1D8A5D6A
	v_pk_fma_f32 v[100:101], v[108:109], v[46:47], v[100:101]  // 000000003B20: D3B04064 1D925D6C
	v_pk_fma_f32 v[102:103], v[110:111], v[46:47], v[102:103]  // 000000003B28: D3B04066 1D9A5D6E
	s_add_u32 s60, 0x300, s80                                  // 000000003B30: 803C50FF 00000300
	s_cmp_lt_u32 s60, s81                                      // 000000003B38: BF0A513C
	s_cselect_b32 s4, s4, 0                                    // 000000003B3C: 85048004
	s_add_u32 s32, s4, s32                                     // 000000003B40: 80202004
	s_addc_u32 s33, 0, s33                                     // 000000003B44: 82212180
	s_waitcnt vmcnt(20)                                        // 000000003B48: BF8C4F74
	s_barrier                                                  // 000000003B4C: BF8A0000
	v_mfma_f32_16x16x128_f8f6f4 v[104:107], a[96:103], v[128:135], 0// 000000003B50: D3AD0068 0A030160
	s_waitcnt vmcnt(20)                                        // 000000003B58: BF8C4F74
	v_mfma_f32_16x16x128_f8f6f4 v[108:111], a[104:111], v[128:135], 0// 000000003B5C: D3AD006C 0A030168
	buffer_load_dwordx4 a[32:35], v36, s[92:95], 0 offen       // 000000003B64: E05C1000 80972024
	buffer_load_dwordx4 a[36:39], v36, s[92:95], 0 offen offset:1024// 000000003B6C: E05C1400 80972424
	buffer_load_dwordx4 a[40:43], v37, s[92:95], 0 offen       // 000000003B74: E05C1000 80972825
	buffer_load_dwordx4 a[44:47], v37, s[92:95], 0 offen offset:1024// 000000003B7C: E05C1400 80972C25
	v_mul_f32_dpp v46, v25, v17 row_newbcast:0 row_mask:0xf bank_mask:0xf// 000000003B84: 0A5C22FA FF015019
	v_mov_b32_e32 v47, v46                                     // 000000003B8C: 7E5E032E
	v_pk_fma_f32 v[64:65], v[104:105], v[46:47], v[64:65]      // 000000003B90: D3B04040 1D025D68
	v_pk_fma_f32 v[66:67], v[106:107], v[46:47], v[66:67]      // 000000003B98: D3B04042 1D0A5D6A
	v_pk_fma_f32 v[68:69], v[108:109], v[46:47], v[68:69]      // 000000003BA0: D3B04044 1D125D6C
	v_pk_fma_f32 v[70:71], v[110:111], v[46:47], v[70:71]      // 000000003BA8: D3B04046 1D1A5D6E
	s_waitcnt vmcnt(22)                                        // 000000003BB0: BF8C4F76
	v_mfma_f32_16x16x128_f8f6f4 v[104:107], a[112:119], v[136:143], 0// 000000003BB4: D3AD0068 0A031170
	ds_read_b128 v[144:147], v2 offset:10752                   // 000000003BBC: D9FE2A00 90000002
	ds_read_b128 v[148:151], v2 offset:10816                   // 000000003BC4: D9FE2A40 94000002
	ds_read_b128 v[152:155], v2 offset:11264                   // 000000003BCC: D9FE2C00 98000002
	ds_read_b128 v[156:159], v2 offset:11328                   // 000000003BD4: D9FE2C40 9C000002
	ds_read_b32 v19, v3 offset:15104                           // 000000003BDC: D86C3B00 13000003
	ds_read_b32 v20, v3 offset:15360                           // 000000003BE4: D86C3C00 14000003
	s_waitcnt vmcnt(20)                                        // 000000003BEC: BF8C4F74
	v_mfma_f32_16x16x128_f8f6f4 v[108:111], a[120:127], v[136:143], 0// 000000003BF0: D3AD006C 0A031178
	buffer_load_dwordx4 a[48:51], v36, s[92:95], 0 offen offset:2048// 000000003BF8: E05C1800 80973024
	buffer_load_dwordx4 a[52:55], v36, s[92:95], 0 offen offset:3072// 000000003C00: E05C1C00 80973424
	buffer_load_dwordx4 a[56:59], v37, s[92:95], 0 offen offset:2048// 000000003C08: E05C1800 80973825
	buffer_load_dwordx4 a[60:63], v37, s[92:95], 0 offen offset:3072// 000000003C10: E05C1C00 80973C25
	v_mul_f32_dpp v46, v25, v18 row_newbcast:2 row_mask:0xf bank_mask:0xf// 000000003C18: 0A5C24FA FF015219
	v_mov_b32_e32 v47, v46                                     // 000000003C20: 7E5E032E
	v_pk_fma_f32 v[64:65], v[104:105], v[46:47], v[64:65]      // 000000003C24: D3B04040 1D025D68
	v_pk_fma_f32 v[66:67], v[106:107], v[46:47], v[66:67]      // 000000003C2C: D3B04042 1D0A5D6A
	v_pk_fma_f32 v[68:69], v[108:109], v[46:47], v[68:69]      // 000000003C34: D3B04044 1D125D6C
	v_pk_fma_f32 v[70:71], v[110:111], v[46:47], v[70:71]      // 000000003C3C: D3B04046 1D1A5D6E
	s_add_u32 s60, 0x300, s80                                  // 000000003C44: 803C50FF 00000300
	s_cmp_lt_u32 s60, s81                                      // 000000003C4C: BF0A513C
	s_cselect_b32 s57, s57, 0                                  // 000000003C50: 85398039
	s_cselect_b32 s3, s3, 0                                    // 000000003C54: 85038003
	s_add_u32 s60, 0x300, s80                                  // 000000003C58: 803C50FF 00000300
	s_cmp_lt_u32 s60, s81                                      // 000000003C60: BF0A513C
	s_cselect_b32 s58, s58, 0                                  // 000000003C64: 853A803A
	s_cselect_b32 s90, s90, 0                                  // 000000003C68: 855A805A
	s_add_u32 s20, s57, s20                                    // 000000003C6C: 80141439
	s_addc_u32 s21, 0, s21                                     // 000000003C70: 82151580
	s_add_u32 s28, s3, s28                                     // 000000003C74: 801C1C03
	s_addc_u32 s29, 0, s29                                     // 000000003C78: 821D1D80
	s_add_u32 s24, s58, s24                                    // 000000003C7C: 8018183A
	s_addc_u32 s25, 0, s25                                     // 000000003C80: 82191980
	s_add_u32 s92, s90, s92                                    // 000000003C84: 805C5C5A
	s_addc_u32 s93, 0, s93                                     // 000000003C88: 825D5D80
	s_addk_i32 s80, 0x100                                      // 000000003C8C: B7500100
	s_cmp_lt_i32 s80, s81                                      // 000000003C90: BF045150
	s_cbranch_scc0 label_043E                                  // 000000003C94: BF840098
	s_waitcnt vmcnt(34) lgkmcnt(0)                             // 000000003C98: BF8C8072
	s_barrier                                                  // 000000003C9C: BF8A0000
	v_mfma_f32_16x16x128_f8f6f4 v[104:107], a[128:135], v[144:151], 0// 000000003CA0: D3AD0068 0A032180
	s_waitcnt vmcnt(26)                                        // 000000003CA8: BF8C4F7A
	v_mfma_f32_16x16x128_f8f6f4 v[108:111], a[136:143], v[144:151], 0// 000000003CAC: D3AD006C 0A032188
	buffer_load_dwordx4 v34, s[20:23], 0 offen lds             // 000000003CB4: E05D1000 80050022
	s_add_u32 m0, m0, s76                                      // 000000003CBC: 807C4C7C
	buffer_load_dword v7, s[28:31], 0 offen lds                // 000000003CC0: E0511000 80070007
	s_add_u32 m0, 0, s52                                       // 000000003CC8: 807C3480
	buffer_load_dword v22, v11, s[32:35], 0 offen              // 000000003CCC: E0501000 8008160B
	buffer_load_dword v25, v13, s[32:35], 0 offen              // 000000003CD4: E0501000 8008190D
	buffer_load_dwordx4 a[64:67], v36, s[24:27], 0 offen       // 000000003CDC: E05C1000 80864024
	buffer_load_dwordx4 a[68:71], v36, s[24:27], 0 offen offset:1024// 000000003CE4: E05C1400 80864424
	buffer_load_dwordx4 a[72:75], v37, s[24:27], 0 offen       // 000000003CEC: E05C1000 80864825
	buffer_load_dwordx4 a[76:79], v37, s[24:27], 0 offen offset:1024// 000000003CF4: E05C1400 80864C25
	v_mul_f32_dpp v46, v23, v19 row_newbcast:0 row_mask:0xf bank_mask:0xf// 000000003CFC: 0A5C26FA FF015017
	v_mov_b32_e32 v47, v46                                     // 000000003D04: 7E5E032E
	v_pk_fma_f32 v[96:97], v[104:105], v[46:47], v[96:97]      // 000000003D08: D3B04060 1D825D68
	v_pk_fma_f32 v[98:99], v[106:107], v[46:47], v[98:99]      // 000000003D10: D3B04062 1D8A5D6A
	v_pk_fma_f32 v[100:101], v[108:109], v[46:47], v[100:101]  // 000000003D18: D3B04064 1D925D6C
	v_pk_fma_f32 v[102:103], v[110:111], v[46:47], v[102:103]  // 000000003D20: D3B04066 1D9A5D6E
	s_waitcnt vmcnt(32)                                        // 000000003D28: BF8C8F70
	v_mfma_f32_16x16x128_f8f6f4 v[104:107], a[144:151], v[152:159], 0// 000000003D2C: D3AD0068 0A033190
	s_waitcnt vmcnt(30)                                        // 000000003D34: BF8C4F7E
	v_mfma_f32_16x16x128_f8f6f4 v[108:111], a[152:159], v[152:159], 0// 000000003D38: D3AD006C 0A033198
	buffer_load_dwordx4 a[80:83], v36, s[24:27], 0 offen offset:2048// 000000003D40: E05C1800 80865024
	buffer_load_dwordx4 a[84:87], v36, s[24:27], 0 offen offset:3072// 000000003D48: E05C1C00 80865424
	buffer_load_dwordx4 a[88:91], v37, s[24:27], 0 offen offset:2048// 000000003D50: E05C1800 80865825
	buffer_load_dwordx4 a[92:95], v37, s[24:27], 0 offen offset:3072// 000000003D58: E05C1C00 80865C25
	v_mul_f32_dpp v46, v23, v20 row_newbcast:2 row_mask:0xf bank_mask:0xf// 000000003D60: 0A5C28FA FF015217
	v_mov_b32_e32 v47, v46                                     // 000000003D68: 7E5E032E
	v_pk_fma_f32 v[96:97], v[104:105], v[46:47], v[96:97]      // 000000003D6C: D3B04060 1D825D68
	v_pk_fma_f32 v[98:99], v[106:107], v[46:47], v[98:99]      // 000000003D74: D3B04062 1D8A5D6A
	v_pk_fma_f32 v[100:101], v[108:109], v[46:47], v[100:101]  // 000000003D7C: D3B04064 1D925D6C
	v_pk_fma_f32 v[102:103], v[110:111], v[46:47], v[102:103]  // 000000003D84: D3B04066 1D9A5D6E
	s_add_u32 s60, 0x300, s80                                  // 000000003D8C: 803C50FF 00000300
	s_cmp_lt_u32 s60, s81                                      // 000000003D94: BF0A513C
	s_cselect_b32 s4, s4, 0                                    // 000000003D98: 85048004
	s_add_u32 s32, s4, s32                                     // 000000003D9C: 80202004
	s_addc_u32 s33, 0, s33                                     // 000000003DA0: 82212180
	s_waitcnt vmcnt(20)                                        // 000000003DA4: BF8C4F74
	s_barrier                                                  // 000000003DA8: BF8A0000
	v_mfma_f32_16x16x128_f8f6f4 v[104:107], a[160:167], v[144:151], 0// 000000003DAC: D3AD0068 0A0321A0
	s_waitcnt vmcnt(20)                                        // 000000003DB4: BF8C4F74
	v_mfma_f32_16x16x128_f8f6f4 v[108:111], a[168:175], v[144:151], 0// 000000003DB8: D3AD006C 0A0321A8
	buffer_load_dwordx4 a[96:99], v36, s[92:95], 0 offen       // 000000003DC0: E05C1000 80976024
	buffer_load_dwordx4 a[100:103], v36, s[92:95], 0 offen offset:1024// 000000003DC8: E05C1400 80976424
	buffer_load_dwordx4 a[104:107], v37, s[92:95], 0 offen     // 000000003DD0: E05C1000 80976825
	buffer_load_dwordx4 a[108:111], v37, s[92:95], 0 offen offset:1024// 000000003DD8: E05C1400 80976C25
	v_mul_f32_dpp v46, v26, v19 row_newbcast:0 row_mask:0xf bank_mask:0xf// 000000003DE0: 0A5C26FA FF01501A
	v_mov_b32_e32 v47, v46                                     // 000000003DE8: 7E5E032E
	v_pk_fma_f32 v[64:65], v[104:105], v[46:47], v[64:65]      // 000000003DEC: D3B04040 1D025D68
	v_pk_fma_f32 v[66:67], v[106:107], v[46:47], v[66:67]      // 000000003DF4: D3B04042 1D0A5D6A
	v_pk_fma_f32 v[68:69], v[108:109], v[46:47], v[68:69]      // 000000003DFC: D3B04044 1D125D6C
	v_pk_fma_f32 v[70:71], v[110:111], v[46:47], v[70:71]      // 000000003E04: D3B04046 1D1A5D6E
	s_waitcnt vmcnt(22)                                        // 000000003E0C: BF8C4F76
	v_mfma_f32_16x16x128_f8f6f4 v[104:107], a[176:183], v[152:159], 0// 000000003E10: D3AD0068 0A0331B0
	ds_read_b128 v[112:115], v2                                // 000000003E18: D9FE0000 70000002
	ds_read_b128 v[116:119], v2 offset:64                      // 000000003E20: D9FE0040 74000002
	ds_read_b128 v[120:123], v2 offset:512                     // 000000003E28: D9FE0200 78000002
	ds_read_b128 v[124:127], v2 offset:576                     // 000000003E30: D9FE0240 7C000002
	ds_read_b32 v15, v3 offset:4352                            // 000000003E38: D86C1100 0F000003
	ds_read_b32 v16, v3 offset:4608                            // 000000003E40: D86C1200 10000003
	s_waitcnt vmcnt(20)                                        // 000000003E48: BF8C4F74
	v_mfma_f32_16x16x128_f8f6f4 v[108:111], a[184:191], v[152:159], 0// 000000003E4C: D3AD006C 0A0331B8
	buffer_load_dwordx4 a[112:115], v36, s[92:95], 0 offen offset:2048// 000000003E54: E05C1800 80977024
	buffer_load_dwordx4 a[116:119], v36, s[92:95], 0 offen offset:3072// 000000003E5C: E05C1C00 80977424
	buffer_load_dwordx4 a[120:123], v37, s[92:95], 0 offen offset:2048// 000000003E64: E05C1800 80977825
	buffer_load_dwordx4 a[124:127], v37, s[92:95], 0 offen offset:3072// 000000003E6C: E05C1C00 80977C25
	v_mul_f32_dpp v46, v26, v20 row_newbcast:2 row_mask:0xf bank_mask:0xf// 000000003E74: 0A5C28FA FF01521A
	v_mov_b32_e32 v47, v46                                     // 000000003E7C: 7E5E032E
	v_pk_fma_f32 v[64:65], v[104:105], v[46:47], v[64:65]      // 000000003E80: D3B04040 1D025D68
	v_pk_fma_f32 v[66:67], v[106:107], v[46:47], v[66:67]      // 000000003E88: D3B04042 1D0A5D6A
	v_pk_fma_f32 v[68:69], v[108:109], v[46:47], v[68:69]      // 000000003E90: D3B04044 1D125D6C
	v_pk_fma_f32 v[70:71], v[110:111], v[46:47], v[70:71]      // 000000003E98: D3B04046 1D1A5D6E
	s_add_u32 s60, 0x300, s80                                  // 000000003EA0: 803C50FF 00000300
	s_cmp_lt_u32 s60, s81                                      // 000000003EA8: BF0A513C
	s_cselect_b32 s57, s57, 0                                  // 000000003EAC: 85398039
	s_cselect_b32 s3, s3, 0                                    // 000000003EB0: 85038003
	s_add_u32 s60, 0x300, s80                                  // 000000003EB4: 803C50FF 00000300
	s_cmp_lt_u32 s60, s81                                      // 000000003EBC: BF0A513C
	s_cselect_b32 s58, s58, 0                                  // 000000003EC0: 853A803A
	s_cselect_b32 s90, s90, 0                                  // 000000003EC4: 855A805A
	s_add_u32 s20, s57, s20                                    // 000000003EC8: 80141439
	s_addc_u32 s21, 0, s21                                     // 000000003ECC: 82151580
	s_add_u32 s28, s3, s28                                     // 000000003ED0: 801C1C03
	s_addc_u32 s29, 0, s29                                     // 000000003ED4: 821D1D80
	s_add_u32 s24, s58, s24                                    // 000000003ED8: 8018183A
	s_addc_u32 s25, 0, s25                                     // 000000003EDC: 82191980
	s_add_u32 s92, s90, s92                                    // 000000003EE0: 805C5C5A
	s_addc_u32 s93, 0, s93                                     // 000000003EE4: 825D5D80
	s_addk_i32 s80, 0x100                                      // 000000003EE8: B7500100
	s_cmp_lt_i32 s80, s81                                      // 000000003EEC: BF045150
	s_cbranch_scc0 label_043E                                  // 000000003EF0: BF840001
	s_branch label_0278                                        // 000000003EF4: BF82FE3A

0000000000003ef8 <label_043E>:
	s_mov_b32 s20, 0                                           // 000000003EF8: BE940080
	s_cmp_lt_u32 s89, s66                                      // 000000003EFC: BF0A4259
	s_cselect_b32 s60, 0, 1                                    // 000000003F00: 853C8180
	s_lshl1_add_u32 s20, s20, s60                              // 000000003F04: 97143C14
	s_cmp_lt_u32 s88, s66                                      // 000000003F08: BF0A4258
	s_cselect_b32 s60, 0, 1                                    // 000000003F0C: 853C8180
	s_lshl1_add_u32 s20, s20, s60                              // 000000003F10: 97143C14
	s_cmp_lt_u32 s87, s66                                      // 000000003F14: BF0A4257
	s_cselect_b32 s60, 0, 1                                    // 000000003F18: 853C8180
	s_lshl1_add_u32 s20, s20, s60                              // 000000003F1C: 97143C14
	s_cmp_lt_u32 s86, s66                                      // 000000003F20: BF0A4256
	s_cselect_b32 s60, 0, 1                                    // 000000003F24: 853C8180
	s_lshl1_add_u32 s20, s20, s60                              // 000000003F28: 97143C14
	s_cmp_lt_u32 s85, s66                                      // 000000003F2C: BF0A4255
	s_cselect_b32 s60, 0, 1                                    // 000000003F30: 853C8180
	s_lshl1_add_u32 s20, s20, s60                              // 000000003F34: 97143C14
	s_cmp_lt_u32 s84, s66                                      // 000000003F38: BF0A4254
	s_cselect_b32 s60, 0, 1                                    // 000000003F3C: 853C8180
	s_lshl1_add_u32 s20, s20, s60                              // 000000003F40: 97143C14
	s_cmp_lt_u32 s83, s66                                      // 000000003F44: BF0A4253
	s_cselect_b32 s60, 0, 1                                    // 000000003F48: 853C8180
	s_lshl1_add_u32 s20, s20, s60                              // 000000003F4C: 97143C14
	s_cmp_lt_u32 s82, s66                                      // 000000003F50: BF0A4252
	s_cselect_b32 s60, 0, 1                                    // 000000003F54: 853C8180
	s_lshl1_add_u32 s20, s20, s60                              // 000000003F58: 97143C14
	s_waitcnt vmcnt(4)                                         // 000000003F5C: BF8C0F74
	buffer_load_dword v21, v6, s[16:19], 0 offen               // 000000003F60: E0501000 80041506
	s_add_u32 s16, s79, s16                                    // 000000003F68: 8010104F
	s_addc_u32 s17, 0, s17                                     // 000000003F6C: 82111180
	buffer_load_dwordx4 a[0:3], v38, s[12:15], 0 offen         // 000000003F70: E05C1000 80830026
	buffer_load_dwordx4 a[4:7], v38, s[12:15], 0 offen offset:1024// 000000003F78: E05C1400 80830426
	buffer_load_dwordx4 a[8:11], v39, s[12:15], 0 offen        // 000000003F80: E05C1000 80830827
	buffer_load_dwordx4 a[12:15], v39, s[12:15], 0 offen offset:1024// 000000003F88: E05C1400 80830C27
	v_mul_f32_e32 v46, v96, v96                                // 000000003F90: 0A5CC160
	v_mul_f32_e32 v47, v97, v97                                // 000000003F94: 0A5EC361
	v_mul_f32_e32 v48, v98, v98                                // 000000003F98: 0A60C562
	v_mul_f32_e32 v49, v99, v99                                // 000000003F9C: 0A62C763
	v_fma_f32 v46, v46, s77, v1                                // 000000003FA0: D1CB002E 04049B2E
	v_fma_f32 v47, v47, s77, v1                                // 000000003FA8: D1CB002F 04049B2F
	v_fma_f32 v48, v48, s77, v1                                // 000000003FB0: D1CB0030 04049B30
	v_fma_f32 v49, v49, s77, v1                                // 000000003FB8: D1CB0031 04049B31
	v_mul_f32_e32 v46, v46, v96                                // 000000003FC0: 0A5CC12E
	v_mul_f32_e32 v47, v47, v97                                // 000000003FC4: 0A5EC32F
	v_mul_f32_e32 v48, v48, v98                                // 000000003FC8: 0A60C530
	v_mul_f32_e32 v49, v49, v99                                // 000000003FCC: 0A62C731
	v_mul_f32_e64 v46, v46, s6                                 // 000000003FD0: D105002E 00000D2E
	v_mul_f32_e64 v47, v47, s6                                 // 000000003FD8: D105002F 00000D2F
	v_mul_f32_e64 v48, v48, s6                                 // 000000003FE0: D1050030 00000D30
	v_mul_f32_e64 v49, v49, s6                                 // 000000003FE8: D1050031 00000D31
	v_exp_f32_e32 v46, v46                                     // 000000003FF0: 7E5C412E
	v_exp_f32_e32 v47, v47                                     // 000000003FF4: 7E5E412F
	v_exp_f32_e32 v48, v48                                     // 000000003FF8: 7E604130
	v_exp_f32_e32 v49, v49                                     // 000000003FFC: 7E624131
	buffer_load_dwordx4 a[16:19], v40, s[12:15], 0 offen       // 000000004000: E05C1000 80831028
	buffer_load_dwordx4 a[20:23], v40, s[12:15], 0 offen offset:1024// 000000004008: E05C1400 80831428
	buffer_load_dwordx4 a[24:27], v41, s[12:15], 0 offen       // 000000004010: E05C1000 80831829
	buffer_load_dwordx4 a[28:31], v41, s[12:15], 0 offen offset:1024// 000000004018: E05C1400 80831C29
	s_add_u32 s12, s56, s12                                    // 000000004020: 800C0C38
	s_addc_u32 s13, 0, s13                                     // 000000004024: 820D0D80
	v_add_f32_e64 v46, v46, 1.0                                // 000000004028: D101002E 0001E52E
	v_add_f32_e64 v47, v47, 1.0                                // 000000004030: D101002F 0001E52F
	v_add_f32_e64 v48, v48, 1.0                                // 000000004038: D1010030 0001E530
	v_add_f32_e64 v49, v49, 1.0                                // 000000004040: D1010031 0001E531
	v_rcp_f32_e32 v46, v46                                     // 000000004048: 7E5C452E
	v_rcp_f32_e32 v47, v47                                     // 00000000404C: 7E5E452F
	v_rcp_f32_e32 v48, v48                                     // 000000004050: 7E604530
	v_rcp_f32_e32 v49, v49                                     // 000000004054: 7E624531
	v_mul_f32_e32 v96, v96, v46                                // 000000004058: 0AC05D60
	v_mul_f32_e32 v97, v97, v47                                // 00000000405C: 0AC25F61
	v_mul_f32_e32 v98, v98, v48                                // 000000004060: 0AC46162
	v_mul_f32_e32 v99, v99, v49                                // 000000004064: 0AC66363
	v_mul_f32_e32 v96, v96, v64                                // 000000004068: 0AC08160
	v_mul_f32_e32 v97, v97, v65                                // 00000000406C: 0AC28361
	v_mul_f32_e32 v98, v98, v66                                // 000000004070: 0AC48562
	v_mul_f32_e32 v99, v99, v67                                // 000000004074: 0AC68763
	s_waitcnt vmcnt(4)                                         // 000000004078: BF8C0F74
	buffer_load_dword v22, v6, s[16:19], 0 offen               // 00000000407C: E0501000 80041606
	s_add_u32 s16, s79, s16                                    // 000000004084: 8010104F
	s_addc_u32 s17, 0, s17                                     // 000000004088: 82111180
	buffer_load_dwordx4 a[32:35], v38, s[12:15], 0 offen       // 00000000408C: E05C1000 80832026
	buffer_load_dwordx4 a[36:39], v38, s[12:15], 0 offen offset:1024// 000000004094: E05C1400 80832426
	buffer_load_dwordx4 a[40:43], v39, s[12:15], 0 offen       // 00000000409C: E05C1000 80832827
	buffer_load_dwordx4 a[44:47], v39, s[12:15], 0 offen offset:1024// 0000000040A4: E05C1400 80832C27
	v_mul_f32_e32 v46, v100, v100                              // 0000000040AC: 0A5CC964
	v_mul_f32_e32 v47, v101, v101                              // 0000000040B0: 0A5ECB65
	v_mul_f32_e32 v48, v102, v102                              // 0000000040B4: 0A60CD66
	v_mul_f32_e32 v49, v103, v103                              // 0000000040B8: 0A62CF67
	v_fma_f32 v46, v46, s77, v1                                // 0000000040BC: D1CB002E 04049B2E
	v_fma_f32 v47, v47, s77, v1                                // 0000000040C4: D1CB002F 04049B2F
	v_fma_f32 v48, v48, s77, v1                                // 0000000040CC: D1CB0030 04049B30
	v_fma_f32 v49, v49, s77, v1                                // 0000000040D4: D1CB0031 04049B31
	v_mul_f32_e32 v46, v46, v100                               // 0000000040DC: 0A5CC92E
	v_mul_f32_e32 v47, v47, v101                               // 0000000040E0: 0A5ECB2F
	v_mul_f32_e32 v48, v48, v102                               // 0000000040E4: 0A60CD30
	v_mul_f32_e32 v49, v49, v103                               // 0000000040E8: 0A62CF31
	v_mul_f32_e64 v46, v46, s6                                 // 0000000040EC: D105002E 00000D2E
	v_mul_f32_e64 v47, v47, s6                                 // 0000000040F4: D105002F 00000D2F
	v_mul_f32_e64 v48, v48, s6                                 // 0000000040FC: D1050030 00000D30
	v_mul_f32_e64 v49, v49, s6                                 // 000000004104: D1050031 00000D31
	v_exp_f32_e32 v46, v46                                     // 00000000410C: 7E5C412E
	v_exp_f32_e32 v47, v47                                     // 000000004110: 7E5E412F
	v_exp_f32_e32 v48, v48                                     // 000000004114: 7E604130
	v_exp_f32_e32 v49, v49                                     // 000000004118: 7E624131
	buffer_load_dwordx4 a[48:51], v40, s[12:15], 0 offen       // 00000000411C: E05C1000 80833028
	buffer_load_dwordx4 a[52:55], v40, s[12:15], 0 offen offset:1024// 000000004124: E05C1400 80833428
	buffer_load_dwordx4 a[56:59], v41, s[12:15], 0 offen       // 00000000412C: E05C1000 80833829
	buffer_load_dwordx4 a[60:63], v41, s[12:15], 0 offen offset:1024// 000000004134: E05C1400 80833C29
	s_add_u32 s12, s56, s12                                    // 00000000413C: 800C0C38
	s_addc_u32 s13, 0, s13                                     // 000000004140: 820D0D80
	v_add_f32_e64 v46, v46, 1.0                                // 000000004144: D101002E 0001E52E
	v_add_f32_e64 v47, v47, 1.0                                // 00000000414C: D101002F 0001E52F
	v_add_f32_e64 v48, v48, 1.0                                // 000000004154: D1010030 0001E530
	v_add_f32_e64 v49, v49, 1.0                                // 00000000415C: D1010031 0001E531
	v_rcp_f32_e32 v46, v46                                     // 000000004164: 7E5C452E
	v_rcp_f32_e32 v47, v47                                     // 000000004168: 7E5E452F
	v_rcp_f32_e32 v48, v48                                     // 00000000416C: 7E604530
	v_rcp_f32_e32 v49, v49                                     // 000000004170: 7E624531
	v_mul_f32_e32 v100, v100, v46                              // 000000004174: 0AC85D64
	v_mul_f32_e32 v101, v101, v47                              // 000000004178: 0ACA5F65
	v_mul_f32_e32 v102, v102, v48                              // 00000000417C: 0ACC6166
	v_mul_f32_e32 v103, v103, v49                              // 000000004180: 0ACE6367
	v_mul_f32_e32 v100, v100, v68                              // 000000004184: 0AC88964
	v_mul_f32_e32 v101, v101, v69                              // 000000004188: 0ACA8B65
	v_mul_f32_e32 v102, v102, v70                              // 00000000418C: 0ACC8D66
	v_mul_f32_e32 v103, v103, v71                              // 000000004190: 0ACE8F67
	v_lshlrev_b32_e32 v46, 2, v0                               // 000000004194: 245C0082
	s_mul_i32 s60, s82, s71                                    // 000000004198: 923C4752
	v_add_u32_e64 v80, v46, s60                                // 00000000419C: D1340050 0000792E
	v_mov_b32_e32 v81, 0                                       // 0000000041A4: 7EA20280
	s_mul_i32 s60, s83, s71                                    // 0000000041A8: 923C4753
	v_add_u32_e64 v82, v46, s60                                // 0000000041AC: D1340052 0000792E
	v_mov_b32_e32 v83, 0                                       // 0000000041B4: 7EA60280
	s_mul_i32 s60, s84, s71                                    // 0000000041B8: 923C4754
	v_add_u32_e64 v84, v46, s60                                // 0000000041BC: D1340054 0000792E
	v_mov_b32_e32 v85, 0                                       // 0000000041C4: 7EAA0280
	s_mul_i32 s60, s85, s71                                    // 0000000041C8: 923C4755
	v_add_u32_e64 v86, v46, s60                                // 0000000041CC: D1340056 0000792E
	v_mov_b32_e32 v87, 0                                       // 0000000041D4: 7EAE0280
	v_mov_b32_e32 v30, 0x358637bd                              // 0000000041D8: 7E3C02FF 358637BD
	v_max3_f32 v30, |v96|, |v97|, v30                          // 0000000041E0: D1D3031E 047AC360
	v_max3_f32 v30, |v98|, |v99|, v30                          // 0000000041E8: D1D3031E 047AC762
	v_max3_f32 v30, |v100|, |v101|, v30                        // 0000000041F0: D1D3031E 047ACB64
	v_max3_f32 v30, |v102|, |v103|, v30                        // 0000000041F8: D1D3031E 047ACF66
	v_mov_b32_e32 v46, v30                                     // 000000004200: 7E5C031E
	s_nop 1                                                    // 000000004204: BF800001
	v_permlane32_swap_b32_e32 v46, v30                         // 000000004208: 7E5CB51E
	v_max_f32_e32 v30, v46, v30                                // 00000000420C: 163C3D2E
	v_mov_b32_e32 v46, v30                                     // 000000004210: 7E5C031E
	s_nop 1                                                    // 000000004214: BF800001
	v_permlane16_swap_b32_e32 v46, v30                         // 000000004218: 7E5CB31E
	v_max_f32_e32 v30, v46, v30                                // 00000000421C: 163C3D2E
	v_lshlrev_b32_e32 v46, 2, v0                               // 000000004220: 245C0082
	s_mul_i32 s60, 64, s7                                      // 000000004224: 923C07C0
	v_add_u32_e32 v46, s60, v46                                // 000000004228: 685C5C3C
	s_mov_b32 s60, 0xffff                                      // 00000000422C: BEBC00FF 0000FFFF
	s_mov_b32 s61, 0                                           // 000000004234: BEBD0080
	s_mov_b64 exec, s[60:61]                                   // 000000004238: BEFE013C
	ds_write_b32 v46, v30 offset:16128                         // 00000000423C: D81A3F00 00001E2E
	s_mov_b32 s60, -1                                          // 000000004244: BEBC00C1
	s_mov_b32 s61, -1                                          // 000000004248: BEBD00C1
	s_mov_b64 exec, s[60:61]                                   // 00000000424C: BEFE013C
	s_waitcnt lgkmcnt(0)                                       // 000000004250: BF8CC07F
	s_barrier                                                  // 000000004254: BF8A0000
	v_lshlrev_b32_e32 v46, 2, v0                               // 000000004258: 245C0082
	ds_read_b32 v104, v46 offset:16128                         // 00000000425C: D86C3F00 6800002E
	s_waitcnt lgkmcnt(0)                                       // 000000004264: BF8CC07F
	v_mov_b32_e32 v46, v104                                    // 000000004268: 7E5C0368
	s_nop 1                                                    // 00000000426C: BF800001
	v_permlane32_swap_b32_e32 v46, v104                        // 000000004270: 7E5CB568
	v_max_f32_e32 v104, v46, v104                              // 000000004274: 16D0D12E
	v_mov_b32_e32 v46, v104                                    // 000000004278: 7E5C0368
	s_nop 1                                                    // 00000000427C: BF800001
	v_permlane16_swap_b32_e32 v46, v104                        // 000000004280: 7E5CB368
	v_max_f32_e32 v104, v46, v104                              // 000000004284: 16D0D12E
	v_max_f32_e32 v30, v104, v30                               // 000000004288: 163C3D68
	v_rcp_f32_e32 v30, v30                                     // 00000000428C: 7E3C451E
	v_mov_b32_e32 v46, 0x43e00000                              // 000000004290: 7E5C02FF 43E00000
	v_mul_f32_e32 v30, v46, v30                                // 000000004298: 0A3C3D2E
	v_mul_f32_e32 v96, v30, v96                                // 00000000429C: 0AC0C11E
	v_mul_f32_e32 v97, v30, v97                                // 0000000042A0: 0AC2C31E
	v_mul_f32_e32 v98, v30, v98                                // 0000000042A4: 0AC4C51E
	v_mul_f32_e32 v99, v30, v99                                // 0000000042A8: 0AC6C71E
	v_cvt_pk_fp8_f32 v96, v96, v97                             // 0000000042AC: D2A20060 0002C360
	v_cvt_pk_fp8_f32 v96, v98, v99 op_sel:[0,0,1]              // 0000000042B4: D2A24060 0002C762
	v_mul_f32_e32 v100, v30, v100                              // 0000000042BC: 0AC8C91E
	v_mul_f32_e32 v101, v30, v101                              // 0000000042C0: 0ACACB1E
	v_mul_f32_e32 v102, v30, v102                              // 0000000042C4: 0ACCCD1E
	v_mul_f32_e32 v103, v30, v103                              // 0000000042C8: 0ACECF1E
	v_cvt_pk_fp8_f32 v97, v100, v101                           // 0000000042CC: D2A20061 0002CB64
	v_cvt_pk_fp8_f32 v97, v102, v103 op_sel:[0,0,1]            // 0000000042D4: D2A24061 0002CF66
	v_rcp_f32_e32 v32, v30                                     // 0000000042DC: 7E40451E
	v_lshrrev_b32_e32 v46, 5, v0                               // 0000000042E0: 205C0085
	v_lshlrev_b32_e32 v47, 6, v46                              // 0000000042E4: 245E5C86
	v_and_b32_e32 v46, 31, v0                                  // 0000000042E8: 265C009F
	v_lshrrev_b32_e32 v48, 4, v46                              // 0000000042EC: 20605C84
	v_add_u32_e32 v47, v48, v47                                // 0000000042F0: 685E5F30
	v_and_b32_e32 v46, 15, v0                                  // 0000000042F4: 265C008F
	v_lshlrev_b32_e32 v46, 1, v46                              // 0000000042F8: 245C5C81
	v_add_u32_e32 v47, v46, v47                                // 0000000042FC: 685E5F2E
	v_lshlrev_b32_e32 v46, 2, v47                              // 000000004300: 245C5E82
	s_mov_b32 s60, 0                                           // 000000004304: BEBC0080
	s_lshr_b32 s61, s7, 1                                      // 000000004308: 8F3D8107
	s_mul_i32 s61, s61, 0x200                                  // 00000000430C: 923DFF3D 00000200
	s_add_u32 s60, s61, s60                                    // 000000004314: 803C3C3D
	s_and_b32 s61, s7, 1                                       // 000000004318: 863D8107
	s_mul_i32 s61, s61, 0x80                                   // 00000000431C: 923DFF3D 00000080
	s_add_u32 s60, s61, s60                                    // 000000004324: 803C3C3D
	v_add_u32_e64 v46, v46, s60                                // 000000004328: D134002E 0000792E
	ds_write_b32 v46, v96 offset:17152                         // 000000004330: D81A4300 0000602E
	ds_write_b32 v46, v97 offset:18176                         // 000000004338: D81A4700 0000612E
	s_waitcnt lgkmcnt(0)                                       // 000000004340: BF8CC07F
	s_barrier                                                  // 000000004344: BF8A0000
	v_and_b32_e32 v46, 31, v0                                  // 000000004348: 265C009F
	v_lshrrev_b32_e32 v46, 4, v46                              // 00000000434C: 205C5C84
	v_lshlrev_b32_e32 v47, 5, v46                              // 000000004350: 245E5C85
	v_lshrrev_b32_e32 v46, 5, v0                               // 000000004354: 205C0085
	v_lshlrev_b32_e32 v46, 7, v46                              // 000000004358: 245C5C87
	v_add_u32_e32 v47, v46, v47                                // 00000000435C: 685E5F2E
	v_and_b32_e32 v46, 15, v0                                  // 000000004360: 265C008F
	v_lshlrev_b32_e32 v46, 1, v46                              // 000000004364: 245C5C81
	v_add_u32_e32 v47, v46, v47                                // 000000004368: 685E5F2E
	v_lshlrev_b32_e32 v46, 2, v47                              // 00000000436C: 245C5E82
	ds_read_b64 v[96:97], v46 offset:17152                     // 000000004370: D8EC4300 6000002E
	ds_read_b64 v[98:99], v46 offset:17408                     // 000000004378: D8EC4400 6200002E
	ds_read_b64 v[100:101], v46 offset:18176                   // 000000004380: D8EC4700 6400002E
	ds_read_b64 v[102:103], v46 offset:18432                   // 000000004388: D8EC4800 6600002E
	s_waitcnt lgkmcnt(0)                                       // 000000004390: BF8CC07F
	s_barrier                                                  // 000000004394: BF8A0000
	v_mov_b32_e32 v112, 0                                      // 000000004398: 7EE00280
	v_mov_b32_e32 v128, 0                                      // 00000000439C: 7F000280
	v_mov_b32_e32 v113, 0                                      // 0000000043A0: 7EE20280
	v_mov_b32_e32 v129, 0                                      // 0000000043A4: 7F020280
	v_mov_b32_e32 v114, 0                                      // 0000000043A8: 7EE40280
	v_mov_b32_e32 v130, 0                                      // 0000000043AC: 7F040280
	v_mov_b32_e32 v115, 0                                      // 0000000043B0: 7EE60280
	v_mov_b32_e32 v131, 0                                      // 0000000043B4: 7F060280
	v_mov_b32_e32 v116, 0                                      // 0000000043B8: 7EE80280
	v_mov_b32_e32 v132, 0                                      // 0000000043BC: 7F080280
	v_mov_b32_e32 v117, 0                                      // 0000000043C0: 7EEA0280
	v_mov_b32_e32 v133, 0                                      // 0000000043C4: 7F0A0280
	v_mov_b32_e32 v118, 0                                      // 0000000043C8: 7EEC0280
	v_mov_b32_e32 v134, 0                                      // 0000000043CC: 7F0C0280
	v_mov_b32_e32 v119, 0                                      // 0000000043D0: 7EEE0280
	v_mov_b32_e32 v135, 0                                      // 0000000043D4: 7F0E0280
	v_mov_b32_e32 v120, 0                                      // 0000000043D8: 7EF00280
	v_mov_b32_e32 v136, 0                                      // 0000000043DC: 7F100280
	v_mov_b32_e32 v121, 0                                      // 0000000043E0: 7EF20280
	v_mov_b32_e32 v137, 0                                      // 0000000043E4: 7F120280
	v_mov_b32_e32 v122, 0                                      // 0000000043E8: 7EF40280
	v_mov_b32_e32 v138, 0                                      // 0000000043EC: 7F140280
	v_mov_b32_e32 v123, 0                                      // 0000000043F0: 7EF60280
	v_mov_b32_e32 v139, 0                                      // 0000000043F4: 7F160280
	v_mov_b32_e32 v124, 0                                      // 0000000043F8: 7EF80280
	v_mov_b32_e32 v140, 0                                      // 0000000043FC: 7F180280
	v_mov_b32_e32 v125, 0                                      // 000000004400: 7EFA0280
	v_mov_b32_e32 v141, 0                                      // 000000004404: 7F1A0280
	v_mov_b32_e32 v126, 0                                      // 000000004408: 7EFC0280
	v_mov_b32_e32 v142, 0                                      // 00000000440C: 7F1C0280
	v_mov_b32_e32 v127, 0                                      // 000000004410: 7EFE0280
	v_mov_b32_e32 v143, 0                                      // 000000004414: 7F1E0280
	ds_write_b64 v4, v[112:113] offset:17152                   // 000000004418: D89A4300 00007004
	ds_write_b64 v4, v[114:115] offset:19328                   // 000000004420: D89A4B80 00007204
	ds_write_b64 v4, v[116:117] offset:21504                   // 000000004428: D89A5400 00007404
	ds_write_b64 v4, v[118:119] offset:23680                   // 000000004430: D89A5C80 00007604
	s_mov_b32 s80, 0                                           // 000000004438: BED00080

000000000000443c <label_058F>:
	s_waitcnt vmcnt(13) lgkmcnt(0)                             // 00000000443C: BF8C007D
	s_barrier                                                  // 000000004440: BF8A0000
	v_mfma_f32_16x16x128_f8f6f4 v[112:115], a[0:7], v[96:103], 0// 000000004444: D3AD0070 0A02C100
	ds_read_b32 v64, v5 offset:17152                           // 00000000444C: D86C4300 40000005
	ds_read_b32 v65, v5 offset:21504                           // 000000004454: D86C5400 41000005
	ds_read_b32 v66, v5 offset:17160                           // 00000000445C: D86C4308 42000005
	ds_read_b32 v67, v5 offset:21512                           // 000000004464: D86C5408 43000005
	ds_read_b32 v68, v5 offset:17184                           // 00000000446C: D86C4320 44000005
	ds_read_b32 v69, v5 offset:21536                           // 000000004474: D86C5420 45000005
	ds_read_b32 v70, v5 offset:17192                           // 00000000447C: D86C4328 46000005
	ds_read_b32 v71, v5 offset:21544                           // 000000004484: D86C5428 47000005
	v_mfma_f32_16x16x128_f8f6f4 v[116:119], a[8:15], v[96:103], 0// 00000000448C: D3AD0074 0A02C108
	buffer_load_dword v23, v6, s[16:19], 0 offen               // 000000004494: E0501000 80041706
	buffer_load_dwordx4 a[64:67], v38, s[12:15], 0 offen       // 00000000449C: E05C1000 80834026
	buffer_load_dwordx4 a[68:71], v38, s[12:15], 0 offen offset:1024// 0000000044A4: E05C1400 80834426
	buffer_load_dwordx4 a[72:75], v39, s[12:15], 0 offen       // 0000000044AC: E05C1000 80834827
	buffer_load_dwordx4 a[76:79], v39, s[12:15], 0 offen offset:1024// 0000000044B4: E05C1400 80834C27
	s_waitcnt vmcnt(13)                                        // 0000000044BC: BF8C0F7D
	v_mfma_f32_16x16x128_f8f6f4 v[120:123], a[16:23], v[96:103], 0// 0000000044C0: D3AD0078 0A02C110
	ds_write_b64 v4, v[128:129] offset:34560                   // 0000000044C8: D89A8700 00008004
	ds_write_b64 v4, v[130:131] offset:36736                   // 0000000044D0: D89A8F80 00008204
	ds_write_b64 v4, v[132:133] offset:38912                   // 0000000044D8: D89A9800 00008404
	ds_write_b64 v4, v[134:135] offset:41088                   // 0000000044E0: D89AA080 00008604
	v_mfma_f32_16x16x128_f8f6f4 v[124:127], a[24:31], v[96:103], 0// 0000000044E8: D3AD007C 0A02C118
	buffer_load_dwordx4 a[80:83], v40, s[12:15], 0 offen       // 0000000044F0: E05C1000 80835028
	buffer_load_dwordx4 a[84:87], v40, s[12:15], 0 offen offset:1024// 0000000044F8: E05C1400 80835428
	buffer_load_dwordx4 a[88:91], v41, s[12:15], 0 offen       // 000000004500: E05C1000 80835829
	buffer_load_dwordx4 a[92:95], v41, s[12:15], 0 offen offset:1024// 000000004508: E05C1400 80835C29
	v_mul_f32_dpp v46, v21, v32 row_newbcast:0 row_mask:0xf bank_mask:0xf// 000000004510: 0A5C40FA FF015015
	v_mov_b32_e32 v47, v46                                     // 000000004518: 7E5E032E
	v_pk_mul_f32 v[112:113], v[46:47], v[112:113]              // 00000000451C: D3B14070 1802E12E
	v_pk_mul_f32 v[114:115], v[46:47], v[114:115]              // 000000004524: D3B14072 1802E52E
	v_pk_mul_f32 v[116:117], v[46:47], v[116:117]              // 00000000452C: D3B14074 1802E92E
	v_pk_mul_f32 v[118:119], v[46:47], v[118:119]              // 000000004534: D3B14076 1802ED2E
	v_mul_f32_dpp v46, v21, v32 row_newbcast:1 row_mask:0xf bank_mask:0xf// 00000000453C: 0A5C40FA FF015115
	v_mov_b32_e32 v47, v46                                     // 000000004544: 7E5E032E
	v_pk_mul_f32 v[120:121], v[46:47], v[120:121]              // 000000004548: D3B14078 1802F12E
	v_pk_mul_f32 v[122:123], v[46:47], v[122:123]              // 000000004550: D3B1407A 1802F52E
	v_pk_mul_f32 v[124:125], v[46:47], v[124:125]              // 000000004558: D3B1407C 1802F92E
	v_pk_mul_f32 v[126:127], v[46:47], v[126:127]              // 000000004560: D3B1407E 1802FD2E
	s_add_u32 s60, 0x300, s80                                  // 000000004568: 803C50FF 00000300
	s_cmp_lt_u32 s60, s81                                      // 000000004570: BF0A513C
	s_cselect_b32 s56, s56, 0                                  // 000000004574: 85388038
	s_cselect_b32 s78, s78, 0                                  // 000000004578: 854E804E
	s_cselect_b32 s79, s79, 0                                  // 00000000457C: 854F804F
	s_add_u32 s12, s56, s12                                    // 000000004580: 800C0C38
	s_addc_u32 s13, 0, s13                                     // 000000004584: 820D0D80
	s_add_u32 s16, s79, s16                                    // 000000004588: 8010104F
	s_addc_u32 s17, 0, s17                                     // 00000000458C: 82111180
	v_mov_b32_e32 v46, v27                                     // 000000004590: 7E5C031B
	v_mov_b32_e32 v47, v27                                     // 000000004594: 7E5E031B
	v_pk_mul_f32 v[112:113], v[46:47], v[112:113]              // 000000004598: D3B14070 1802E12E
	v_pk_mul_f32 v[114:115], v[46:47], v[114:115]              // 0000000045A0: D3B14072 1802E52E
	v_pk_mul_f32 v[116:117], v[46:47], v[116:117]              // 0000000045A8: D3B14074 1802E92E
	v_pk_mul_f32 v[118:119], v[46:47], v[118:119]              // 0000000045B0: D3B14076 1802ED2E
	v_pk_mul_f32 v[120:121], v[46:47], v[120:121]              // 0000000045B8: D3B14078 1802F12E
	v_pk_mul_f32 v[122:123], v[46:47], v[122:123]              // 0000000045C0: D3B1407A 1802F52E
	v_pk_mul_f32 v[124:125], v[46:47], v[124:125]              // 0000000045C8: D3B1407C 1802F92E
	v_pk_mul_f32 v[126:127], v[46:47], v[126:127]              // 0000000045D0: D3B1407E 1802FD2E
	v_cvt_pk_bf16_f32 v112, v112, v113                         // 0000000045D8: D2680070 0002E370
	v_cvt_pk_bf16_f32 v113, v114, v115                         // 0000000045E0: D2680071 0002E772
	v_cvt_pk_bf16_f32 v114, v116, v117                         // 0000000045E8: D2680072 0002EB74
	v_cvt_pk_bf16_f32 v115, v118, v119                         // 0000000045F0: D2680073 0002EF76
	v_cvt_pk_bf16_f32 v116, v120, v121                         // 0000000045F8: D2680074 0002F378
	v_cvt_pk_bf16_f32 v117, v122, v123                         // 000000004600: D2680075 0002F77A
	v_cvt_pk_bf16_f32 v118, v124, v125                         // 000000004608: D2680076 0002FB7C
	v_cvt_pk_bf16_f32 v119, v126, v127                         // 000000004610: D2680077 0002FF7E
	s_cmp_ge_u32 s80, 0x200                                    // 000000004618: BF09FF50 00000200
	s_cselect_b32 s59, 0x200, s59                              // 000000004620: 853B3BFF 00000200
	s_waitcnt lgkmcnt(0)                                       // 000000004628: BF8CC07F
	s_barrier                                                  // 00000000462C: BF8A0000
	s_setvskip s20, 0                                          // 000000004630: BF108014
	global_atomic_pk_add_bf16 v80, v64, s[8:9]                 // 000000004634: DD488000 00084050
	s_setvskip 0, 0                                            // 00000000463C: BF108080
	s_setvskip s20, 0                                          // 000000004640: BF108014
	global_atomic_pk_add_bf16 v80, v65, s[8:9] offset:256      // 000000004644: DD488100 00084150
	s_setvskip 0, 0                                            // 00000000464C: BF108080
	s_setvskip s20, 1                                          // 000000004650: BF108114
	global_atomic_pk_add_bf16 v82, v66, s[8:9]                 // 000000004654: DD488000 00084252
	s_setvskip 0, 0                                            // 00000000465C: BF108080
	s_setvskip s20, 1                                          // 000000004660: BF108114
	global_atomic_pk_add_bf16 v82, v67, s[8:9] offset:256      // 000000004664: DD488100 00084352
	s_setvskip 0, 0                                            // 00000000466C: BF108080
	s_setvskip s20, 2                                          // 000000004670: BF108214
	global_atomic_pk_add_bf16 v84, v68, s[8:9]                 // 000000004674: DD488000 00084454
	s_setvskip 0, 0                                            // 00000000467C: BF108080
	s_setvskip s20, 2                                          // 000000004680: BF108214
	global_atomic_pk_add_bf16 v84, v69, s[8:9] offset:256      // 000000004684: DD488100 00084554
	s_setvskip 0, 0                                            // 00000000468C: BF108080
	s_setvskip s20, 3                                          // 000000004690: BF108314
	global_atomic_pk_add_bf16 v86, v70, s[8:9]                 // 000000004694: DD488000 00084656
	s_setvskip 0, 0                                            // 00000000469C: BF108080
	s_setvskip s20, 3                                          // 0000000046A0: BF108314
	global_atomic_pk_add_bf16 v86, v71, s[8:9] offset:256      // 0000000046A4: DD488100 00084756
	s_setvskip 0, 0                                            // 0000000046AC: BF108080
	s_add_u32 s8, s59, s8                                      // 0000000046B0: 8008083B
	s_addc_u32 s9, 0, s9                                       // 0000000046B4: 82090980
	s_addk_i32 s80, 0x100                                      // 0000000046B8: B7500100
	s_cmp_lt_i32 s80, s81                                      // 0000000046BC: BF045150
	s_cbranch_scc0 label_095C                                  // 0000000046C0: BF84032B
	s_waitcnt vmcnt(13) lgkmcnt(0)                             // 0000000046C4: BF8C007D
	s_barrier                                                  // 0000000046C8: BF8A0000
	v_mfma_f32_16x16x128_f8f6f4 v[128:131], a[32:39], v[96:103], 0// 0000000046CC: D3AD0080 0A02C120
	ds_read_b32 v64, v5 offset:34560                           // 0000000046D4: D86C8700 40000005
	ds_read_b32 v65, v5 offset:38912                           // 0000000046DC: D86C9800 41000005
	ds_read_b32 v66, v5 offset:34568                           // 0000000046E4: D86C8708 42000005
	ds_read_b32 v67, v5 offset:38920                           // 0000000046EC: D86C9808 43000005
	ds_read_b32 v68, v5 offset:34592                           // 0000000046F4: D86C8720 44000005
	ds_read_b32 v69, v5 offset:38944                           // 0000000046FC: D86C9820 45000005
	ds_read_b32 v70, v5 offset:34600                           // 000000004704: D86C8728 46000005
	ds_read_b32 v71, v5 offset:38952                           // 00000000470C: D86C9828 47000005
	v_mfma_f32_16x16x128_f8f6f4 v[132:135], a[40:47], v[96:103], 0// 000000004714: D3AD0084 0A02C128
	buffer_load_dword v21, v6, s[16:19], 0 offen               // 00000000471C: E0501000 80041506
	buffer_load_dwordx4 a[0:3], v38, s[12:15], 0 offen         // 000000004724: E05C1000 80830026
	buffer_load_dwordx4 a[4:7], v38, s[12:15], 0 offen offset:1024// 00000000472C: E05C1400 80830426
	buffer_load_dwordx4 a[8:11], v39, s[12:15], 0 offen        // 000000004734: E05C1000 80830827
	buffer_load_dwordx4 a[12:15], v39, s[12:15], 0 offen offset:1024// 00000000473C: E05C1400 80830C27
	s_waitcnt vmcnt(13)                                        // 000000004744: BF8C0F7D
	v_mfma_f32_16x16x128_f8f6f4 v[136:139], a[48:55], v[96:103], 0// 000000004748: D3AD0088 0A02C130
	ds_write_b64 v4, v[112:113] offset:17152                   // 000000004750: D89A4300 00007004
	ds_write_b64 v4, v[114:115] offset:19328                   // 000000004758: D89A4B80 00007204
	ds_write_b64 v4, v[116:117] offset:21504                   // 000000004760: D89A5400 00007404
	ds_write_b64 v4, v[118:119] offset:23680                   // 000000004768: D89A5C80 00007604
	v_mfma_f32_16x16x128_f8f6f4 v[140:143], a[56:63], v[96:103], 0// 000000004770: D3AD008C 0A02C138
	buffer_load_dwordx4 a[16:19], v40, s[12:15], 0 offen       // 000000004778: E05C1000 80831028
	buffer_load_dwordx4 a[20:23], v40, s[12:15], 0 offen offset:1024// 000000004780: E05C1400 80831428
	buffer_load_dwordx4 a[24:27], v41, s[12:15], 0 offen       // 000000004788: E05C1000 80831829
	buffer_load_dwordx4 a[28:31], v41, s[12:15], 0 offen offset:1024// 000000004790: E05C1400 80831C29
	v_mul_f32_dpp v46, v22, v32 row_newbcast:0 row_mask:0xf bank_mask:0xf// 000000004798: 0A5C40FA FF015016
	v_mov_b32_e32 v47, v46                                     // 0000000047A0: 7E5E032E
	v_pk_mul_f32 v[128:129], v[46:47], v[128:129]              // 0000000047A4: D3B14080 1803012E
	v_pk_mul_f32 v[130:131], v[46:47], v[130:131]              // 0000000047AC: D3B14082 1803052E
	v_pk_mul_f32 v[132:133], v[46:47], v[132:133]              // 0000000047B4: D3B14084 1803092E
	v_pk_mul_f32 v[134:135], v[46:47], v[134:135]              // 0000000047BC: D3B14086 18030D2E
	v_mul_f32_dpp v46, v22, v32 row_newbcast:1 row_mask:0xf bank_mask:0xf// 0000000047C4: 0A5C40FA FF015116
	v_mov_b32_e32 v47, v46                                     // 0000000047CC: 7E5E032E
	v_pk_mul_f32 v[136:137], v[46:47], v[136:137]              // 0000000047D0: D3B14088 1803112E
	v_pk_mul_f32 v[138:139], v[46:47], v[138:139]              // 0000000047D8: D3B1408A 1803152E
	v_pk_mul_f32 v[140:141], v[46:47], v[140:141]              // 0000000047E0: D3B1408C 1803192E
	v_pk_mul_f32 v[142:143], v[46:47], v[142:143]              // 0000000047E8: D3B1408E 18031D2E
	s_add_u32 s60, 0x300, s80                                  // 0000000047F0: 803C50FF 00000300
	s_cmp_lt_u32 s60, s81                                      // 0000000047F8: BF0A513C
	s_cselect_b32 s56, s56, 0                                  // 0000000047FC: 85388038
	s_cselect_b32 s78, s78, 0                                  // 000000004800: 854E804E
	s_cselect_b32 s79, s79, 0                                  // 000000004804: 854F804F
	s_add_u32 s12, s56, s12                                    // 000000004808: 800C0C38
	s_addc_u32 s13, 0, s13                                     // 00000000480C: 820D0D80
	s_add_u32 s16, s79, s16                                    // 000000004810: 8010104F
	s_addc_u32 s17, 0, s17                                     // 000000004814: 82111180
	v_mov_b32_e32 v46, v27                                     // 000000004818: 7E5C031B
	v_mov_b32_e32 v47, v27                                     // 00000000481C: 7E5E031B
	v_pk_mul_f32 v[128:129], v[46:47], v[128:129]              // 000000004820: D3B14080 1803012E
	v_pk_mul_f32 v[130:131], v[46:47], v[130:131]              // 000000004828: D3B14082 1803052E
	v_pk_mul_f32 v[132:133], v[46:47], v[132:133]              // 000000004830: D3B14084 1803092E
	v_pk_mul_f32 v[134:135], v[46:47], v[134:135]              // 000000004838: D3B14086 18030D2E
	v_pk_mul_f32 v[136:137], v[46:47], v[136:137]              // 000000004840: D3B14088 1803112E
	v_pk_mul_f32 v[138:139], v[46:47], v[138:139]              // 000000004848: D3B1408A 1803152E
	v_pk_mul_f32 v[140:141], v[46:47], v[140:141]              // 000000004850: D3B1408C 1803192E
	v_pk_mul_f32 v[142:143], v[46:47], v[142:143]              // 000000004858: D3B1408E 18031D2E
	v_cvt_pk_bf16_f32 v128, v128, v129                         // 000000004860: D2680080 00030380
	v_cvt_pk_bf16_f32 v129, v130, v131                         // 000000004868: D2680081 00030782
	v_cvt_pk_bf16_f32 v130, v132, v133                         // 000000004870: D2680082 00030B84
	v_cvt_pk_bf16_f32 v131, v134, v135                         // 000000004878: D2680083 00030F86
	v_cvt_pk_bf16_f32 v132, v136, v137                         // 000000004880: D2680084 00031388
	v_cvt_pk_bf16_f32 v133, v138, v139                         // 000000004888: D2680085 0003178A
	v_cvt_pk_bf16_f32 v134, v140, v141                         // 000000004890: D2680086 00031B8C
	v_cvt_pk_bf16_f32 v135, v142, v143                         // 000000004898: D2680087 00031F8E
	s_cmp_ge_u32 s80, 0x200                                    // 0000000048A0: BF09FF50 00000200
	s_cselect_b32 s59, 0x200, s59                              // 0000000048A8: 853B3BFF 00000200
	s_waitcnt lgkmcnt(0)                                       // 0000000048B0: BF8CC07F
	s_barrier                                                  // 0000000048B4: BF8A0000
	s_setvskip s20, 0                                          // 0000000048B8: BF108014
	global_atomic_pk_add_bf16 v80, v64, s[8:9]                 // 0000000048BC: DD488000 00084050
	s_setvskip 0, 0                                            // 0000000048C4: BF108080
	s_setvskip s20, 0                                          // 0000000048C8: BF108014
	global_atomic_pk_add_bf16 v80, v65, s[8:9] offset:256      // 0000000048CC: DD488100 00084150
	s_setvskip 0, 0                                            // 0000000048D4: BF108080
	s_setvskip s20, 1                                          // 0000000048D8: BF108114
	global_atomic_pk_add_bf16 v82, v66, s[8:9]                 // 0000000048DC: DD488000 00084252
	s_setvskip 0, 0                                            // 0000000048E4: BF108080
	s_setvskip s20, 1                                          // 0000000048E8: BF108114
	global_atomic_pk_add_bf16 v82, v67, s[8:9] offset:256      // 0000000048EC: DD488100 00084352
	s_setvskip 0, 0                                            // 0000000048F4: BF108080
	s_setvskip s20, 2                                          // 0000000048F8: BF108214
	global_atomic_pk_add_bf16 v84, v68, s[8:9]                 // 0000000048FC: DD488000 00084454
	s_setvskip 0, 0                                            // 000000004904: BF108080
	s_setvskip s20, 2                                          // 000000004908: BF108214
	global_atomic_pk_add_bf16 v84, v69, s[8:9] offset:256      // 00000000490C: DD488100 00084554
	s_setvskip 0, 0                                            // 000000004914: BF108080
	s_setvskip s20, 3                                          // 000000004918: BF108314
	global_atomic_pk_add_bf16 v86, v70, s[8:9]                 // 00000000491C: DD488000 00084656
	s_setvskip 0, 0                                            // 000000004924: BF108080
	s_setvskip s20, 3                                          // 000000004928: BF108314
	global_atomic_pk_add_bf16 v86, v71, s[8:9] offset:256      // 00000000492C: DD488100 00084756
	s_setvskip 0, 0                                            // 000000004934: BF108080
	s_add_u32 s8, s59, s8                                      // 000000004938: 8008083B
	s_addc_u32 s9, 0, s9                                       // 00000000493C: 82090980
	s_addk_i32 s80, 0x100                                      // 000000004940: B7500100
	s_cmp_lt_i32 s80, s81                                      // 000000004944: BF045150
	s_cbranch_scc0 label_095C                                  // 000000004948: BF840289
	s_waitcnt vmcnt(13) lgkmcnt(0)                             // 00000000494C: BF8C007D
	s_barrier                                                  // 000000004950: BF8A0000
	v_mfma_f32_16x16x128_f8f6f4 v[112:115], a[64:71], v[96:103], 0// 000000004954: D3AD0070 0A02C140
	ds_read_b32 v64, v5 offset:17152                           // 00000000495C: D86C4300 40000005
	ds_read_b32 v65, v5 offset:21504                           // 000000004964: D86C5400 41000005
	ds_read_b32 v66, v5 offset:17160                           // 00000000496C: D86C4308 42000005
	ds_read_b32 v67, v5 offset:21512                           // 000000004974: D86C5408 43000005
	ds_read_b32 v68, v5 offset:17184                           // 00000000497C: D86C4320 44000005
	ds_read_b32 v69, v5 offset:21536                           // 000000004984: D86C5420 45000005
	ds_read_b32 v70, v5 offset:17192                           // 00000000498C: D86C4328 46000005
	ds_read_b32 v71, v5 offset:21544                           // 000000004994: D86C5428 47000005
	v_mfma_f32_16x16x128_f8f6f4 v[116:119], a[72:79], v[96:103], 0// 00000000499C: D3AD0074 0A02C148
	buffer_load_dword v22, v6, s[16:19], 0 offen               // 0000000049A4: E0501000 80041606
	buffer_load_dwordx4 a[32:35], v38, s[12:15], 0 offen       // 0000000049AC: E05C1000 80832026
	buffer_load_dwordx4 a[36:39], v38, s[12:15], 0 offen offset:1024// 0000000049B4: E05C1400 80832426
	buffer_load_dwordx4 a[40:43], v39, s[12:15], 0 offen       // 0000000049BC: E05C1000 80832827
	buffer_load_dwordx4 a[44:47], v39, s[12:15], 0 offen offset:1024// 0000000049C4: E05C1400 80832C27
	s_waitcnt vmcnt(13)                                        // 0000000049CC: BF8C0F7D
	v_mfma_f32_16x16x128_f8f6f4 v[120:123], a[80:87], v[96:103], 0// 0000000049D0: D3AD0078 0A02C150
	ds_write_b64 v4, v[128:129] offset:34560                   // 0000000049D8: D89A8700 00008004
	ds_write_b64 v4, v[130:131] offset:36736                   // 0000000049E0: D89A8F80 00008204
	ds_write_b64 v4, v[132:133] offset:38912                   // 0000000049E8: D89A9800 00008404
	ds_write_b64 v4, v[134:135] offset:41088                   // 0000000049F0: D89AA080 00008604
	v_mfma_f32_16x16x128_f8f6f4 v[124:127], a[88:95], v[96:103], 0// 0000000049F8: D3AD007C 0A02C158
	buffer_load_dwordx4 a[48:51], v40, s[12:15], 0 offen       // 000000004A00: E05C1000 80833028
	buffer_load_dwordx4 a[52:55], v40, s[12:15], 0 offen offset:1024// 000000004A08: E05C1400 80833428
	buffer_load_dwordx4 a[56:59], v41, s[12:15], 0 offen       // 000000004A10: E05C1000 80833829
	buffer_load_dwordx4 a[60:63], v41, s[12:15], 0 offen offset:1024// 000000004A18: E05C1400 80833C29
	v_mul_f32_dpp v46, v23, v32 row_newbcast:0 row_mask:0xf bank_mask:0xf// 000000004A20: 0A5C40FA FF015017
	v_mov_b32_e32 v47, v46                                     // 000000004A28: 7E5E032E
	v_pk_mul_f32 v[112:113], v[46:47], v[112:113]              // 000000004A2C: D3B14070 1802E12E
	v_pk_mul_f32 v[114:115], v[46:47], v[114:115]              // 000000004A34: D3B14072 1802E52E
	v_pk_mul_f32 v[116:117], v[46:47], v[116:117]              // 000000004A3C: D3B14074 1802E92E
	v_pk_mul_f32 v[118:119], v[46:47], v[118:119]              // 000000004A44: D3B14076 1802ED2E
	v_mul_f32_dpp v46, v23, v32 row_newbcast:1 row_mask:0xf bank_mask:0xf// 000000004A4C: 0A5C40FA FF015117
	v_mov_b32_e32 v47, v46                                     // 000000004A54: 7E5E032E
	v_pk_mul_f32 v[120:121], v[46:47], v[120:121]              // 000000004A58: D3B14078 1802F12E
	v_pk_mul_f32 v[122:123], v[46:47], v[122:123]              // 000000004A60: D3B1407A 1802F52E
	v_pk_mul_f32 v[124:125], v[46:47], v[124:125]              // 000000004A68: D3B1407C 1802F92E
	v_pk_mul_f32 v[126:127], v[46:47], v[126:127]              // 000000004A70: D3B1407E 1802FD2E
	s_add_u32 s60, 0x300, s80                                  // 000000004A78: 803C50FF 00000300
	s_cmp_lt_u32 s60, s81                                      // 000000004A80: BF0A513C
	s_cselect_b32 s56, s56, 0                                  // 000000004A84: 85388038
	s_cselect_b32 s78, s78, 0                                  // 000000004A88: 854E804E
	s_cselect_b32 s79, s79, 0                                  // 000000004A8C: 854F804F
	s_add_u32 s12, s56, s12                                    // 000000004A90: 800C0C38
	s_addc_u32 s13, 0, s13                                     // 000000004A94: 820D0D80
	s_add_u32 s16, s79, s16                                    // 000000004A98: 8010104F
	s_addc_u32 s17, 0, s17                                     // 000000004A9C: 82111180
	v_mov_b32_e32 v46, v27                                     // 000000004AA0: 7E5C031B
	v_mov_b32_e32 v47, v27                                     // 000000004AA4: 7E5E031B
	v_pk_mul_f32 v[112:113], v[46:47], v[112:113]              // 000000004AA8: D3B14070 1802E12E
	v_pk_mul_f32 v[114:115], v[46:47], v[114:115]              // 000000004AB0: D3B14072 1802E52E
	v_pk_mul_f32 v[116:117], v[46:47], v[116:117]              // 000000004AB8: D3B14074 1802E92E
	v_pk_mul_f32 v[118:119], v[46:47], v[118:119]              // 000000004AC0: D3B14076 1802ED2E
	v_pk_mul_f32 v[120:121], v[46:47], v[120:121]              // 000000004AC8: D3B14078 1802F12E
	v_pk_mul_f32 v[122:123], v[46:47], v[122:123]              // 000000004AD0: D3B1407A 1802F52E
	v_pk_mul_f32 v[124:125], v[46:47], v[124:125]              // 000000004AD8: D3B1407C 1802F92E
	v_pk_mul_f32 v[126:127], v[46:47], v[126:127]              // 000000004AE0: D3B1407E 1802FD2E
	v_cvt_pk_bf16_f32 v112, v112, v113                         // 000000004AE8: D2680070 0002E370
	v_cvt_pk_bf16_f32 v113, v114, v115                         // 000000004AF0: D2680071 0002E772
	v_cvt_pk_bf16_f32 v114, v116, v117                         // 000000004AF8: D2680072 0002EB74
	v_cvt_pk_bf16_f32 v115, v118, v119                         // 000000004B00: D2680073 0002EF76
	v_cvt_pk_bf16_f32 v116, v120, v121                         // 000000004B08: D2680074 0002F378
	v_cvt_pk_bf16_f32 v117, v122, v123                         // 000000004B10: D2680075 0002F77A
	v_cvt_pk_bf16_f32 v118, v124, v125                         // 000000004B18: D2680076 0002FB7C
	v_cvt_pk_bf16_f32 v119, v126, v127                         // 000000004B20: D2680077 0002FF7E
	s_cmp_ge_u32 s80, 0x200                                    // 000000004B28: BF09FF50 00000200
	s_cselect_b32 s59, 0x200, s59                              // 000000004B30: 853B3BFF 00000200
	s_waitcnt lgkmcnt(0)                                       // 000000004B38: BF8CC07F
	s_barrier                                                  // 000000004B3C: BF8A0000
	s_setvskip s20, 0                                          // 000000004B40: BF108014
	global_atomic_pk_add_bf16 v80, v64, s[8:9]                 // 000000004B44: DD488000 00084050
	s_setvskip 0, 0                                            // 000000004B4C: BF108080
	s_setvskip s20, 0                                          // 000000004B50: BF108014
	global_atomic_pk_add_bf16 v80, v65, s[8:9] offset:256      // 000000004B54: DD488100 00084150
	s_setvskip 0, 0                                            // 000000004B5C: BF108080
	s_setvskip s20, 1                                          // 000000004B60: BF108114
	global_atomic_pk_add_bf16 v82, v66, s[8:9]                 // 000000004B64: DD488000 00084252
	s_setvskip 0, 0                                            // 000000004B6C: BF108080
	s_setvskip s20, 1                                          // 000000004B70: BF108114
	global_atomic_pk_add_bf16 v82, v67, s[8:9] offset:256      // 000000004B74: DD488100 00084352
	s_setvskip 0, 0                                            // 000000004B7C: BF108080
	s_setvskip s20, 2                                          // 000000004B80: BF108214
	global_atomic_pk_add_bf16 v84, v68, s[8:9]                 // 000000004B84: DD488000 00084454
	s_setvskip 0, 0                                            // 000000004B8C: BF108080
	s_setvskip s20, 2                                          // 000000004B90: BF108214
	global_atomic_pk_add_bf16 v84, v69, s[8:9] offset:256      // 000000004B94: DD488100 00084554
	s_setvskip 0, 0                                            // 000000004B9C: BF108080
	s_setvskip s20, 3                                          // 000000004BA0: BF108314
	global_atomic_pk_add_bf16 v86, v70, s[8:9]                 // 000000004BA4: DD488000 00084656
	s_setvskip 0, 0                                            // 000000004BAC: BF108080
	s_setvskip s20, 3                                          // 000000004BB0: BF108314
	global_atomic_pk_add_bf16 v86, v71, s[8:9] offset:256      // 000000004BB4: DD488100 00084756
	s_setvskip 0, 0                                            // 000000004BBC: BF108080
	s_add_u32 s8, s59, s8                                      // 000000004BC0: 8008083B
	s_addc_u32 s9, 0, s9                                       // 000000004BC4: 82090980
	s_addk_i32 s80, 0x100                                      // 000000004BC8: B7500100
	s_cmp_lt_i32 s80, s81                                      // 000000004BCC: BF045150
	s_cbranch_scc0 label_095C                                  // 000000004BD0: BF8401E7
	s_waitcnt vmcnt(13) lgkmcnt(0)                             // 000000004BD4: BF8C007D
	s_barrier                                                  // 000000004BD8: BF8A0000
	v_mfma_f32_16x16x128_f8f6f4 v[128:131], a[0:7], v[96:103], 0// 000000004BDC: D3AD0080 0A02C100
	ds_read_b32 v64, v5 offset:34560                           // 000000004BE4: D86C8700 40000005
	ds_read_b32 v65, v5 offset:38912                           // 000000004BEC: D86C9800 41000005
	ds_read_b32 v66, v5 offset:34568                           // 000000004BF4: D86C8708 42000005
	ds_read_b32 v67, v5 offset:38920                           // 000000004BFC: D86C9808 43000005
	ds_read_b32 v68, v5 offset:34592                           // 000000004C04: D86C8720 44000005
	ds_read_b32 v69, v5 offset:38944                           // 000000004C0C: D86C9820 45000005
	ds_read_b32 v70, v5 offset:34600                           // 000000004C14: D86C8728 46000005
	ds_read_b32 v71, v5 offset:38952                           // 000000004C1C: D86C9828 47000005
	v_mfma_f32_16x16x128_f8f6f4 v[132:135], a[8:15], v[96:103], 0// 000000004C24: D3AD0084 0A02C108
	buffer_load_dword v23, v6, s[16:19], 0 offen               // 000000004C2C: E0501000 80041706
	buffer_load_dwordx4 a[64:67], v38, s[12:15], 0 offen       // 000000004C34: E05C1000 80834026
	buffer_load_dwordx4 a[68:71], v38, s[12:15], 0 offen offset:1024// 000000004C3C: E05C1400 80834426
	buffer_load_dwordx4 a[72:75], v39, s[12:15], 0 offen       // 000000004C44: E05C1000 80834827
	buffer_load_dwordx4 a[76:79], v39, s[12:15], 0 offen offset:1024// 000000004C4C: E05C1400 80834C27
	s_waitcnt vmcnt(13)                                        // 000000004C54: BF8C0F7D
	v_mfma_f32_16x16x128_f8f6f4 v[136:139], a[16:23], v[96:103], 0// 000000004C58: D3AD0088 0A02C110
	ds_write_b64 v4, v[112:113] offset:17152                   // 000000004C60: D89A4300 00007004
	ds_write_b64 v4, v[114:115] offset:19328                   // 000000004C68: D89A4B80 00007204
	ds_write_b64 v4, v[116:117] offset:21504                   // 000000004C70: D89A5400 00007404
	ds_write_b64 v4, v[118:119] offset:23680                   // 000000004C78: D89A5C80 00007604
	v_mfma_f32_16x16x128_f8f6f4 v[140:143], a[24:31], v[96:103], 0// 000000004C80: D3AD008C 0A02C118
	buffer_load_dwordx4 a[80:83], v40, s[12:15], 0 offen       // 000000004C88: E05C1000 80835028
	buffer_load_dwordx4 a[84:87], v40, s[12:15], 0 offen offset:1024// 000000004C90: E05C1400 80835428
	buffer_load_dwordx4 a[88:91], v41, s[12:15], 0 offen       // 000000004C98: E05C1000 80835829
	buffer_load_dwordx4 a[92:95], v41, s[12:15], 0 offen offset:1024// 000000004CA0: E05C1400 80835C29
	v_mul_f32_dpp v46, v21, v32 row_newbcast:0 row_mask:0xf bank_mask:0xf// 000000004CA8: 0A5C40FA FF015015
	v_mov_b32_e32 v47, v46                                     // 000000004CB0: 7E5E032E
	v_pk_mul_f32 v[128:129], v[46:47], v[128:129]              // 000000004CB4: D3B14080 1803012E
	v_pk_mul_f32 v[130:131], v[46:47], v[130:131]              // 000000004CBC: D3B14082 1803052E
	v_pk_mul_f32 v[132:133], v[46:47], v[132:133]              // 000000004CC4: D3B14084 1803092E
	v_pk_mul_f32 v[134:135], v[46:47], v[134:135]              // 000000004CCC: D3B14086 18030D2E
	v_mul_f32_dpp v46, v21, v32 row_newbcast:1 row_mask:0xf bank_mask:0xf// 000000004CD4: 0A5C40FA FF015115
	v_mov_b32_e32 v47, v46                                     // 000000004CDC: 7E5E032E
	v_pk_mul_f32 v[136:137], v[46:47], v[136:137]              // 000000004CE0: D3B14088 1803112E
	v_pk_mul_f32 v[138:139], v[46:47], v[138:139]              // 000000004CE8: D3B1408A 1803152E
	v_pk_mul_f32 v[140:141], v[46:47], v[140:141]              // 000000004CF0: D3B1408C 1803192E
	v_pk_mul_f32 v[142:143], v[46:47], v[142:143]              // 000000004CF8: D3B1408E 18031D2E
	s_add_u32 s60, 0x300, s80                                  // 000000004D00: 803C50FF 00000300
	s_cmp_lt_u32 s60, s81                                      // 000000004D08: BF0A513C
	s_cselect_b32 s56, s56, 0                                  // 000000004D0C: 85388038
	s_cselect_b32 s78, s78, 0                                  // 000000004D10: 854E804E
	s_cselect_b32 s79, s79, 0                                  // 000000004D14: 854F804F
	s_add_u32 s12, s56, s12                                    // 000000004D18: 800C0C38
	s_addc_u32 s13, 0, s13                                     // 000000004D1C: 820D0D80
	s_add_u32 s16, s79, s16                                    // 000000004D20: 8010104F
	s_addc_u32 s17, 0, s17                                     // 000000004D24: 82111180
	v_mov_b32_e32 v46, v27                                     // 000000004D28: 7E5C031B
	v_mov_b32_e32 v47, v27                                     // 000000004D2C: 7E5E031B
	v_pk_mul_f32 v[128:129], v[46:47], v[128:129]              // 000000004D30: D3B14080 1803012E
	v_pk_mul_f32 v[130:131], v[46:47], v[130:131]              // 000000004D38: D3B14082 1803052E
	v_pk_mul_f32 v[132:133], v[46:47], v[132:133]              // 000000004D40: D3B14084 1803092E
	v_pk_mul_f32 v[134:135], v[46:47], v[134:135]              // 000000004D48: D3B14086 18030D2E
	v_pk_mul_f32 v[136:137], v[46:47], v[136:137]              // 000000004D50: D3B14088 1803112E
	v_pk_mul_f32 v[138:139], v[46:47], v[138:139]              // 000000004D58: D3B1408A 1803152E
	v_pk_mul_f32 v[140:141], v[46:47], v[140:141]              // 000000004D60: D3B1408C 1803192E
	v_pk_mul_f32 v[142:143], v[46:47], v[142:143]              // 000000004D68: D3B1408E 18031D2E
	v_cvt_pk_bf16_f32 v128, v128, v129                         // 000000004D70: D2680080 00030380
	v_cvt_pk_bf16_f32 v129, v130, v131                         // 000000004D78: D2680081 00030782
	v_cvt_pk_bf16_f32 v130, v132, v133                         // 000000004D80: D2680082 00030B84
	v_cvt_pk_bf16_f32 v131, v134, v135                         // 000000004D88: D2680083 00030F86
	v_cvt_pk_bf16_f32 v132, v136, v137                         // 000000004D90: D2680084 00031388
	v_cvt_pk_bf16_f32 v133, v138, v139                         // 000000004D98: D2680085 0003178A
	v_cvt_pk_bf16_f32 v134, v140, v141                         // 000000004DA0: D2680086 00031B8C
	v_cvt_pk_bf16_f32 v135, v142, v143                         // 000000004DA8: D2680087 00031F8E
	s_cmp_ge_u32 s80, 0x200                                    // 000000004DB0: BF09FF50 00000200
	s_cselect_b32 s59, 0x200, s59                              // 000000004DB8: 853B3BFF 00000200
	s_waitcnt lgkmcnt(0)                                       // 000000004DC0: BF8CC07F
	s_barrier                                                  // 000000004DC4: BF8A0000
	s_setvskip s20, 0                                          // 000000004DC8: BF108014
	global_atomic_pk_add_bf16 v80, v64, s[8:9]                 // 000000004DCC: DD488000 00084050
	s_setvskip 0, 0                                            // 000000004DD4: BF108080
	s_setvskip s20, 0                                          // 000000004DD8: BF108014
	global_atomic_pk_add_bf16 v80, v65, s[8:9] offset:256      // 000000004DDC: DD488100 00084150
	s_setvskip 0, 0                                            // 000000004DE4: BF108080
	s_setvskip s20, 1                                          // 000000004DE8: BF108114
	global_atomic_pk_add_bf16 v82, v66, s[8:9]                 // 000000004DEC: DD488000 00084252
	s_setvskip 0, 0                                            // 000000004DF4: BF108080
	s_setvskip s20, 1                                          // 000000004DF8: BF108114
	global_atomic_pk_add_bf16 v82, v67, s[8:9] offset:256      // 000000004DFC: DD488100 00084352
	s_setvskip 0, 0                                            // 000000004E04: BF108080
	s_setvskip s20, 2                                          // 000000004E08: BF108214
	global_atomic_pk_add_bf16 v84, v68, s[8:9]                 // 000000004E0C: DD488000 00084454
	s_setvskip 0, 0                                            // 000000004E14: BF108080
	s_setvskip s20, 2                                          // 000000004E18: BF108214
	global_atomic_pk_add_bf16 v84, v69, s[8:9] offset:256      // 000000004E1C: DD488100 00084554
	s_setvskip 0, 0                                            // 000000004E24: BF108080
	s_setvskip s20, 3                                          // 000000004E28: BF108314
	global_atomic_pk_add_bf16 v86, v70, s[8:9]                 // 000000004E2C: DD488000 00084656
	s_setvskip 0, 0                                            // 000000004E34: BF108080
	s_setvskip s20, 3                                          // 000000004E38: BF108314
	global_atomic_pk_add_bf16 v86, v71, s[8:9] offset:256      // 000000004E3C: DD488100 00084756
	s_setvskip 0, 0                                            // 000000004E44: BF108080
	s_add_u32 s8, s59, s8                                      // 000000004E48: 8008083B
	s_addc_u32 s9, 0, s9                                       // 000000004E4C: 82090980
	s_addk_i32 s80, 0x100                                      // 000000004E50: B7500100
	s_cmp_lt_i32 s80, s81                                      // 000000004E54: BF045150
	s_cbranch_scc0 label_095C                                  // 000000004E58: BF840145
	s_waitcnt vmcnt(13) lgkmcnt(0)                             // 000000004E5C: BF8C007D
	s_barrier                                                  // 000000004E60: BF8A0000
	v_mfma_f32_16x16x128_f8f6f4 v[112:115], a[32:39], v[96:103], 0// 000000004E64: D3AD0070 0A02C120
	ds_read_b32 v64, v5 offset:17152                           // 000000004E6C: D86C4300 40000005
	ds_read_b32 v65, v5 offset:21504                           // 000000004E74: D86C5400 41000005
	ds_read_b32 v66, v5 offset:17160                           // 000000004E7C: D86C4308 42000005
	ds_read_b32 v67, v5 offset:21512                           // 000000004E84: D86C5408 43000005
	ds_read_b32 v68, v5 offset:17184                           // 000000004E8C: D86C4320 44000005
	ds_read_b32 v69, v5 offset:21536                           // 000000004E94: D86C5420 45000005
	ds_read_b32 v70, v5 offset:17192                           // 000000004E9C: D86C4328 46000005
	ds_read_b32 v71, v5 offset:21544                           // 000000004EA4: D86C5428 47000005
	v_mfma_f32_16x16x128_f8f6f4 v[116:119], a[40:47], v[96:103], 0// 000000004EAC: D3AD0074 0A02C128
	buffer_load_dword v21, v6, s[16:19], 0 offen               // 000000004EB4: E0501000 80041506
	buffer_load_dwordx4 a[0:3], v38, s[12:15], 0 offen         // 000000004EBC: E05C1000 80830026
	buffer_load_dwordx4 a[4:7], v38, s[12:15], 0 offen offset:1024// 000000004EC4: E05C1400 80830426
	buffer_load_dwordx4 a[8:11], v39, s[12:15], 0 offen        // 000000004ECC: E05C1000 80830827
	buffer_load_dwordx4 a[12:15], v39, s[12:15], 0 offen offset:1024// 000000004ED4: E05C1400 80830C27
	s_waitcnt vmcnt(13)                                        // 000000004EDC: BF8C0F7D
	v_mfma_f32_16x16x128_f8f6f4 v[120:123], a[48:55], v[96:103], 0// 000000004EE0: D3AD0078 0A02C130
	ds_write_b64 v4, v[128:129] offset:34560                   // 000000004EE8: D89A8700 00008004
	ds_write_b64 v4, v[130:131] offset:36736                   // 000000004EF0: D89A8F80 00008204
	ds_write_b64 v4, v[132:133] offset:38912                   // 000000004EF8: D89A9800 00008404
	ds_write_b64 v4, v[134:135] offset:41088                   // 000000004F00: D89AA080 00008604
	v_mfma_f32_16x16x128_f8f6f4 v[124:127], a[56:63], v[96:103], 0// 000000004F08: D3AD007C 0A02C138
	buffer_load_dwordx4 a[16:19], v40, s[12:15], 0 offen       // 000000004F10: E05C1000 80831028
	buffer_load_dwordx4 a[20:23], v40, s[12:15], 0 offen offset:1024// 000000004F18: E05C1400 80831428
	buffer_load_dwordx4 a[24:27], v41, s[12:15], 0 offen       // 000000004F20: E05C1000 80831829
	buffer_load_dwordx4 a[28:31], v41, s[12:15], 0 offen offset:1024// 000000004F28: E05C1400 80831C29
	v_mul_f32_dpp v46, v22, v32 row_newbcast:0 row_mask:0xf bank_mask:0xf// 000000004F30: 0A5C40FA FF015016
	v_mov_b32_e32 v47, v46                                     // 000000004F38: 7E5E032E
	v_pk_mul_f32 v[112:113], v[46:47], v[112:113]              // 000000004F3C: D3B14070 1802E12E
	v_pk_mul_f32 v[114:115], v[46:47], v[114:115]              // 000000004F44: D3B14072 1802E52E
	v_pk_mul_f32 v[116:117], v[46:47], v[116:117]              // 000000004F4C: D3B14074 1802E92E
	v_pk_mul_f32 v[118:119], v[46:47], v[118:119]              // 000000004F54: D3B14076 1802ED2E
	v_mul_f32_dpp v46, v22, v32 row_newbcast:1 row_mask:0xf bank_mask:0xf// 000000004F5C: 0A5C40FA FF015116
	v_mov_b32_e32 v47, v46                                     // 000000004F64: 7E5E032E
	v_pk_mul_f32 v[120:121], v[46:47], v[120:121]              // 000000004F68: D3B14078 1802F12E
	v_pk_mul_f32 v[122:123], v[46:47], v[122:123]              // 000000004F70: D3B1407A 1802F52E
	v_pk_mul_f32 v[124:125], v[46:47], v[124:125]              // 000000004F78: D3B1407C 1802F92E
	v_pk_mul_f32 v[126:127], v[46:47], v[126:127]              // 000000004F80: D3B1407E 1802FD2E
	s_add_u32 s60, 0x300, s80                                  // 000000004F88: 803C50FF 00000300
	s_cmp_lt_u32 s60, s81                                      // 000000004F90: BF0A513C
	s_cselect_b32 s56, s56, 0                                  // 000000004F94: 85388038
	s_cselect_b32 s78, s78, 0                                  // 000000004F98: 854E804E
	s_cselect_b32 s79, s79, 0                                  // 000000004F9C: 854F804F
	s_add_u32 s12, s56, s12                                    // 000000004FA0: 800C0C38
	s_addc_u32 s13, 0, s13                                     // 000000004FA4: 820D0D80
	s_add_u32 s16, s79, s16                                    // 000000004FA8: 8010104F
	s_addc_u32 s17, 0, s17                                     // 000000004FAC: 82111180
	v_mov_b32_e32 v46, v27                                     // 000000004FB0: 7E5C031B
	v_mov_b32_e32 v47, v27                                     // 000000004FB4: 7E5E031B
	v_pk_mul_f32 v[112:113], v[46:47], v[112:113]              // 000000004FB8: D3B14070 1802E12E
	v_pk_mul_f32 v[114:115], v[46:47], v[114:115]              // 000000004FC0: D3B14072 1802E52E
	v_pk_mul_f32 v[116:117], v[46:47], v[116:117]              // 000000004FC8: D3B14074 1802E92E
	v_pk_mul_f32 v[118:119], v[46:47], v[118:119]              // 000000004FD0: D3B14076 1802ED2E
	v_pk_mul_f32 v[120:121], v[46:47], v[120:121]              // 000000004FD8: D3B14078 1802F12E
	v_pk_mul_f32 v[122:123], v[46:47], v[122:123]              // 000000004FE0: D3B1407A 1802F52E
	v_pk_mul_f32 v[124:125], v[46:47], v[124:125]              // 000000004FE8: D3B1407C 1802F92E
	v_pk_mul_f32 v[126:127], v[46:47], v[126:127]              // 000000004FF0: D3B1407E 1802FD2E
	v_cvt_pk_bf16_f32 v112, v112, v113                         // 000000004FF8: D2680070 0002E370
	v_cvt_pk_bf16_f32 v113, v114, v115                         // 000000005000: D2680071 0002E772
	v_cvt_pk_bf16_f32 v114, v116, v117                         // 000000005008: D2680072 0002EB74
	v_cvt_pk_bf16_f32 v115, v118, v119                         // 000000005010: D2680073 0002EF76
	v_cvt_pk_bf16_f32 v116, v120, v121                         // 000000005018: D2680074 0002F378
	v_cvt_pk_bf16_f32 v117, v122, v123                         // 000000005020: D2680075 0002F77A
	v_cvt_pk_bf16_f32 v118, v124, v125                         // 000000005028: D2680076 0002FB7C
	v_cvt_pk_bf16_f32 v119, v126, v127                         // 000000005030: D2680077 0002FF7E
	s_cmp_ge_u32 s80, 0x200                                    // 000000005038: BF09FF50 00000200
	s_cselect_b32 s59, 0x200, s59                              // 000000005040: 853B3BFF 00000200
	s_waitcnt lgkmcnt(0)                                       // 000000005048: BF8CC07F
	s_barrier                                                  // 00000000504C: BF8A0000
	s_setvskip s20, 0                                          // 000000005050: BF108014
	global_atomic_pk_add_bf16 v80, v64, s[8:9]                 // 000000005054: DD488000 00084050
	s_setvskip 0, 0                                            // 00000000505C: BF108080
	s_setvskip s20, 0                                          // 000000005060: BF108014
	global_atomic_pk_add_bf16 v80, v65, s[8:9] offset:256      // 000000005064: DD488100 00084150
	s_setvskip 0, 0                                            // 00000000506C: BF108080
	s_setvskip s20, 1                                          // 000000005070: BF108114
	global_atomic_pk_add_bf16 v82, v66, s[8:9]                 // 000000005074: DD488000 00084252
	s_setvskip 0, 0                                            // 00000000507C: BF108080
	s_setvskip s20, 1                                          // 000000005080: BF108114
	global_atomic_pk_add_bf16 v82, v67, s[8:9] offset:256      // 000000005084: DD488100 00084352
	s_setvskip 0, 0                                            // 00000000508C: BF108080
	s_setvskip s20, 2                                          // 000000005090: BF108214
	global_atomic_pk_add_bf16 v84, v68, s[8:9]                 // 000000005094: DD488000 00084454
	s_setvskip 0, 0                                            // 00000000509C: BF108080
	s_setvskip s20, 2                                          // 0000000050A0: BF108214
	global_atomic_pk_add_bf16 v84, v69, s[8:9] offset:256      // 0000000050A4: DD488100 00084554
	s_setvskip 0, 0                                            // 0000000050AC: BF108080
	s_setvskip s20, 3                                          // 0000000050B0: BF108314
	global_atomic_pk_add_bf16 v86, v70, s[8:9]                 // 0000000050B4: DD488000 00084656
	s_setvskip 0, 0                                            // 0000000050BC: BF108080
	s_setvskip s20, 3                                          // 0000000050C0: BF108314
	global_atomic_pk_add_bf16 v86, v71, s[8:9] offset:256      // 0000000050C4: DD488100 00084756
	s_setvskip 0, 0                                            // 0000000050CC: BF108080
	s_add_u32 s8, s59, s8                                      // 0000000050D0: 8008083B
	s_addc_u32 s9, 0, s9                                       // 0000000050D4: 82090980
	s_addk_i32 s80, 0x100                                      // 0000000050D8: B7500100
	s_cmp_lt_i32 s80, s81                                      // 0000000050DC: BF045150
	s_cbranch_scc0 label_095C                                  // 0000000050E0: BF8400A3
	s_waitcnt vmcnt(13) lgkmcnt(0)                             // 0000000050E4: BF8C007D
	s_barrier                                                  // 0000000050E8: BF8A0000
	v_mfma_f32_16x16x128_f8f6f4 v[128:131], a[64:71], v[96:103], 0// 0000000050EC: D3AD0080 0A02C140
	ds_read_b32 v64, v5 offset:34560                           // 0000000050F4: D86C8700 40000005
	ds_read_b32 v65, v5 offset:38912                           // 0000000050FC: D86C9800 41000005
	ds_read_b32 v66, v5 offset:34568                           // 000000005104: D86C8708 42000005
	ds_read_b32 v67, v5 offset:38920                           // 00000000510C: D86C9808 43000005
	ds_read_b32 v68, v5 offset:34592                           // 000000005114: D86C8720 44000005
	ds_read_b32 v69, v5 offset:38944                           // 00000000511C: D86C9820 45000005
	ds_read_b32 v70, v5 offset:34600                           // 000000005124: D86C8728 46000005
	ds_read_b32 v71, v5 offset:38952                           // 00000000512C: D86C9828 47000005
	v_mfma_f32_16x16x128_f8f6f4 v[132:135], a[72:79], v[96:103], 0// 000000005134: D3AD0084 0A02C148
	buffer_load_dword v22, v6, s[16:19], 0 offen               // 00000000513C: E0501000 80041606
	buffer_load_dwordx4 a[32:35], v38, s[12:15], 0 offen       // 000000005144: E05C1000 80832026
	buffer_load_dwordx4 a[36:39], v38, s[12:15], 0 offen offset:1024// 00000000514C: E05C1400 80832426
	buffer_load_dwordx4 a[40:43], v39, s[12:15], 0 offen       // 000000005154: E05C1000 80832827
	buffer_load_dwordx4 a[44:47], v39, s[12:15], 0 offen offset:1024// 00000000515C: E05C1400 80832C27
	s_waitcnt vmcnt(13)                                        // 000000005164: BF8C0F7D
	v_mfma_f32_16x16x128_f8f6f4 v[136:139], a[80:87], v[96:103], 0// 000000005168: D3AD0088 0A02C150
	ds_write_b64 v4, v[112:113] offset:17152                   // 000000005170: D89A4300 00007004
	ds_write_b64 v4, v[114:115] offset:19328                   // 000000005178: D89A4B80 00007204
	ds_write_b64 v4, v[116:117] offset:21504                   // 000000005180: D89A5400 00007404
	ds_write_b64 v4, v[118:119] offset:23680                   // 000000005188: D89A5C80 00007604
	v_mfma_f32_16x16x128_f8f6f4 v[140:143], a[88:95], v[96:103], 0// 000000005190: D3AD008C 0A02C158
	buffer_load_dwordx4 a[48:51], v40, s[12:15], 0 offen       // 000000005198: E05C1000 80833028
	buffer_load_dwordx4 a[52:55], v40, s[12:15], 0 offen offset:1024// 0000000051A0: E05C1400 80833428
	buffer_load_dwordx4 a[56:59], v41, s[12:15], 0 offen       // 0000000051A8: E05C1000 80833829
	buffer_load_dwordx4 a[60:63], v41, s[12:15], 0 offen offset:1024// 0000000051B0: E05C1400 80833C29
	v_mul_f32_dpp v46, v23, v32 row_newbcast:0 row_mask:0xf bank_mask:0xf// 0000000051B8: 0A5C40FA FF015017
	v_mov_b32_e32 v47, v46                                     // 0000000051C0: 7E5E032E
	v_pk_mul_f32 v[128:129], v[46:47], v[128:129]              // 0000000051C4: D3B14080 1803012E
	v_pk_mul_f32 v[130:131], v[46:47], v[130:131]              // 0000000051CC: D3B14082 1803052E
	v_pk_mul_f32 v[132:133], v[46:47], v[132:133]              // 0000000051D4: D3B14084 1803092E
	v_pk_mul_f32 v[134:135], v[46:47], v[134:135]              // 0000000051DC: D3B14086 18030D2E
	v_mul_f32_dpp v46, v23, v32 row_newbcast:1 row_mask:0xf bank_mask:0xf// 0000000051E4: 0A5C40FA FF015117
	v_mov_b32_e32 v47, v46                                     // 0000000051EC: 7E5E032E
	v_pk_mul_f32 v[136:137], v[46:47], v[136:137]              // 0000000051F0: D3B14088 1803112E
	v_pk_mul_f32 v[138:139], v[46:47], v[138:139]              // 0000000051F8: D3B1408A 1803152E
	v_pk_mul_f32 v[140:141], v[46:47], v[140:141]              // 000000005200: D3B1408C 1803192E
	v_pk_mul_f32 v[142:143], v[46:47], v[142:143]              // 000000005208: D3B1408E 18031D2E
	s_add_u32 s60, 0x300, s80                                  // 000000005210: 803C50FF 00000300
	s_cmp_lt_u32 s60, s81                                      // 000000005218: BF0A513C
	s_cselect_b32 s56, s56, 0                                  // 00000000521C: 85388038
	s_cselect_b32 s78, s78, 0                                  // 000000005220: 854E804E
	s_cselect_b32 s79, s79, 0                                  // 000000005224: 854F804F
	s_add_u32 s12, s56, s12                                    // 000000005228: 800C0C38
	s_addc_u32 s13, 0, s13                                     // 00000000522C: 820D0D80
	s_add_u32 s16, s79, s16                                    // 000000005230: 8010104F
	s_addc_u32 s17, 0, s17                                     // 000000005234: 82111180
	v_mov_b32_e32 v46, v27                                     // 000000005238: 7E5C031B
	v_mov_b32_e32 v47, v27                                     // 00000000523C: 7E5E031B
	v_pk_mul_f32 v[128:129], v[46:47], v[128:129]              // 000000005240: D3B14080 1803012E
	v_pk_mul_f32 v[130:131], v[46:47], v[130:131]              // 000000005248: D3B14082 1803052E
	v_pk_mul_f32 v[132:133], v[46:47], v[132:133]              // 000000005250: D3B14084 1803092E
	v_pk_mul_f32 v[134:135], v[46:47], v[134:135]              // 000000005258: D3B14086 18030D2E
	v_pk_mul_f32 v[136:137], v[46:47], v[136:137]              // 000000005260: D3B14088 1803112E
	v_pk_mul_f32 v[138:139], v[46:47], v[138:139]              // 000000005268: D3B1408A 1803152E
	v_pk_mul_f32 v[140:141], v[46:47], v[140:141]              // 000000005270: D3B1408C 1803192E
	v_pk_mul_f32 v[142:143], v[46:47], v[142:143]              // 000000005278: D3B1408E 18031D2E
	v_cvt_pk_bf16_f32 v128, v128, v129                         // 000000005280: D2680080 00030380
	v_cvt_pk_bf16_f32 v129, v130, v131                         // 000000005288: D2680081 00030782
	v_cvt_pk_bf16_f32 v130, v132, v133                         // 000000005290: D2680082 00030B84
	v_cvt_pk_bf16_f32 v131, v134, v135                         // 000000005298: D2680083 00030F86
	v_cvt_pk_bf16_f32 v132, v136, v137                         // 0000000052A0: D2680084 00031388
	v_cvt_pk_bf16_f32 v133, v138, v139                         // 0000000052A8: D2680085 0003178A
	v_cvt_pk_bf16_f32 v134, v140, v141                         // 0000000052B0: D2680086 00031B8C
	v_cvt_pk_bf16_f32 v135, v142, v143                         // 0000000052B8: D2680087 00031F8E
	s_cmp_ge_u32 s80, 0x200                                    // 0000000052C0: BF09FF50 00000200
	s_cselect_b32 s59, 0x200, s59                              // 0000000052C8: 853B3BFF 00000200
	s_waitcnt lgkmcnt(0)                                       // 0000000052D0: BF8CC07F
	s_barrier                                                  // 0000000052D4: BF8A0000
	s_setvskip s20, 0                                          // 0000000052D8: BF108014
	global_atomic_pk_add_bf16 v80, v64, s[8:9]                 // 0000000052DC: DD488000 00084050
	s_setvskip 0, 0                                            // 0000000052E4: BF108080
	s_setvskip s20, 0                                          // 0000000052E8: BF108014
	global_atomic_pk_add_bf16 v80, v65, s[8:9] offset:256      // 0000000052EC: DD488100 00084150
	s_setvskip 0, 0                                            // 0000000052F4: BF108080
	s_setvskip s20, 1                                          // 0000000052F8: BF108114
	global_atomic_pk_add_bf16 v82, v66, s[8:9]                 // 0000000052FC: DD488000 00084252
	s_setvskip 0, 0                                            // 000000005304: BF108080
	s_setvskip s20, 1                                          // 000000005308: BF108114
	global_atomic_pk_add_bf16 v82, v67, s[8:9] offset:256      // 00000000530C: DD488100 00084352
	s_setvskip 0, 0                                            // 000000005314: BF108080
	s_setvskip s20, 2                                          // 000000005318: BF108214
	global_atomic_pk_add_bf16 v84, v68, s[8:9]                 // 00000000531C: DD488000 00084454
	s_setvskip 0, 0                                            // 000000005324: BF108080
	s_setvskip s20, 2                                          // 000000005328: BF108214
	global_atomic_pk_add_bf16 v84, v69, s[8:9] offset:256      // 00000000532C: DD488100 00084554
	s_setvskip 0, 0                                            // 000000005334: BF108080
	s_setvskip s20, 3                                          // 000000005338: BF108314
	global_atomic_pk_add_bf16 v86, v70, s[8:9]                 // 00000000533C: DD488000 00084656
	s_setvskip 0, 0                                            // 000000005344: BF108080
	s_setvskip s20, 3                                          // 000000005348: BF108314
	global_atomic_pk_add_bf16 v86, v71, s[8:9] offset:256      // 00000000534C: DD488100 00084756
	s_setvskip 0, 0                                            // 000000005354: BF108080
	s_add_u32 s8, s59, s8                                      // 000000005358: 8008083B
	s_addc_u32 s9, 0, s9                                       // 00000000535C: 82090980
	s_addk_i32 s80, 0x100                                      // 000000005360: B7500100
	s_cmp_lt_i32 s80, s81                                      // 000000005364: BF045150
	s_cbranch_scc0 label_095C                                  // 000000005368: BF840001
	s_branch label_058F                                        // 00000000536C: BF82FC33

0000000000005370 <label_095C>:
	s_nop 0                                                    // 000000005370: BF800000
	s_nop 0                                                    // 000000005374: BF800000
	s_branch label_1043                                        // 000000005378: BF8206E4

000000000000537c <label_095F>:
	s_waitcnt vmcnt(34) lgkmcnt(0)                             // 00000000537C: BF8C8072
	s_barrier                                                  // 000000005380: BF8A0000
	v_mfma_f32_16x16x128_f8f6f4 v[104:107], a[0:7], v[112:119], 0// 000000005384: D3AD0068 0A02E100
	buffer_load_dwordx4 v34, s[20:23], 0 offen lds             // 00000000538C: E05D1000 80050022
	s_add_u32 m0, m0, s76                                      // 000000005394: 807C4C7C
	buffer_load_dword v7, s[28:31], 0 offen lds                // 000000005398: E0511000 80070007
	s_add_u32 m0, 0, s50                                       // 0000000053A0: 807C3280
	buffer_load_dword v23, v11, s[32:35], 0 offen              // 0000000053A4: E0501000 8008170B
	buffer_load_dword v26, v13, s[32:35], 0 offen              // 0000000053AC: E0501000 80081A0D
	buffer_load_dwordx4 a[128:131], v36, s[24:27], 0 offen     // 0000000053B4: E05C1000 80868024
	buffer_load_dwordx4 a[132:135], v36, s[24:27], 0 offen offset:1024// 0000000053BC: E05C1400 80868424
	buffer_load_dwordx4 a[136:139], v37, s[24:27], 0 offen     // 0000000053C4: E05C1000 80868825
	buffer_load_dwordx4 a[140:143], v37, s[24:27], 0 offen offset:1024// 0000000053CC: E05C1400 80868C25
	s_waitcnt vmcnt(34)                                        // 0000000053D4: BF8C8F72
	v_mfma_f32_16x16x128_f8f6f4 v[108:111], a[8:15], v[112:119], 0// 0000000053D8: D3AD006C 0A02E108
	v_mul_f32_dpp v46, v21, v15 row_newbcast:0 row_mask:0xf bank_mask:0xf// 0000000053E0: 0A5C1EFA FF015015
	v_mov_b32_e32 v47, v46                                     // 0000000053E8: 7E5E032E
	v_pk_fma_f32 v[96:97], v[104:105], v[46:47], v[96:97]      // 0000000053EC: D3B04060 1D825D68
	v_pk_fma_f32 v[98:99], v[106:107], v[46:47], v[98:99]      // 0000000053F4: D3B04062 1D8A5D6A
	v_pk_fma_f32 v[100:101], v[108:109], v[46:47], v[100:101]  // 0000000053FC: D3B04064 1D925D6C
	v_pk_fma_f32 v[102:103], v[110:111], v[46:47], v[102:103]  // 000000005404: D3B04066 1D9A5D6E
	s_waitcnt vmcnt(32)                                        // 00000000540C: BF8C8F70
	v_mfma_f32_16x16x128_f8f6f4 v[104:107], a[16:23], v[120:127], 0// 000000005410: D3AD0068 0A02F110
	buffer_load_dwordx4 a[144:147], v36, s[24:27], 0 offen offset:2048// 000000005418: E05C1800 80869024
	buffer_load_dwordx4 a[148:151], v36, s[24:27], 0 offen offset:3072// 000000005420: E05C1C00 80869424
	buffer_load_dwordx4 a[152:155], v37, s[24:27], 0 offen offset:2048// 000000005428: E05C1800 80869825
	buffer_load_dwordx4 a[156:159], v37, s[24:27], 0 offen offset:3072// 000000005430: E05C1C00 80869C25
	s_waitcnt vmcnt(34)                                        // 000000005438: BF8C8F72
	v_mfma_f32_16x16x128_f8f6f4 v[108:111], a[24:31], v[120:127], 0// 00000000543C: D3AD006C 0A02F118
	v_mul_f32_dpp v46, v21, v16 row_newbcast:2 row_mask:0xf bank_mask:0xf// 000000005444: 0A5C20FA FF015215
	v_mov_b32_e32 v47, v46                                     // 00000000544C: 7E5E032E
	v_pk_fma_f32 v[96:97], v[104:105], v[46:47], v[96:97]      // 000000005450: D3B04060 1D825D68
	v_pk_fma_f32 v[98:99], v[106:107], v[46:47], v[98:99]      // 000000005458: D3B04062 1D8A5D6A
	v_pk_fma_f32 v[100:101], v[108:109], v[46:47], v[100:101]  // 000000005460: D3B04064 1D925D6C
	v_pk_fma_f32 v[102:103], v[110:111], v[46:47], v[102:103]  // 000000005468: D3B04066 1D9A5D6E
	s_add_u32 s60, 0x300, s80                                  // 000000005470: 803C50FF 00000300
	s_cmp_lt_u32 s60, s81                                      // 000000005478: BF0A513C
	s_cselect_b32 s4, s4, 0                                    // 00000000547C: 85048004
	s_add_u32 s32, s4, s32                                     // 000000005480: 80202004
	s_addc_u32 s33, 0, s33                                     // 000000005484: 82212180
	s_waitcnt vmcnt(20)                                        // 000000005488: BF8C4F74
	s_barrier                                                  // 00000000548C: BF8A0000
	v_mfma_f32_16x16x128_f8f6f4 v[104:107], a[32:39], v[112:119], 0// 000000005490: D3AD0068 0A02E120
	buffer_load_dwordx4 a[160:163], v36, s[92:95], 0 offen     // 000000005498: E05C1000 8097A024
	buffer_load_dwordx4 a[164:167], v36, s[92:95], 0 offen offset:1024// 0000000054A0: E05C1400 8097A424
	buffer_load_dwordx4 a[168:171], v37, s[92:95], 0 offen     // 0000000054A8: E05C1000 8097A825
	buffer_load_dwordx4 a[172:175], v37, s[92:95], 0 offen offset:1024// 0000000054B0: E05C1400 8097AC25
	s_waitcnt vmcnt(24)                                        // 0000000054B8: BF8C4F78
	v_mfma_f32_16x16x128_f8f6f4 v[108:111], a[40:47], v[112:119], 0// 0000000054BC: D3AD006C 0A02E128
	v_mul_f32_dpp v46, v24, v15 row_newbcast:0 row_mask:0xf bank_mask:0xf// 0000000054C4: 0A5C1EFA FF015018
	v_mov_b32_e32 v47, v46                                     // 0000000054CC: 7E5E032E
	v_pk_fma_f32 v[64:65], v[104:105], v[46:47], v[64:65]      // 0000000054D0: D3B04040 1D025D68
	v_pk_fma_f32 v[66:67], v[106:107], v[46:47], v[66:67]      // 0000000054D8: D3B04042 1D0A5D6A
	v_pk_fma_f32 v[68:69], v[108:109], v[46:47], v[68:69]      // 0000000054E0: D3B04044 1D125D6C
	v_pk_fma_f32 v[70:71], v[110:111], v[46:47], v[70:71]      // 0000000054E8: D3B04046 1D1A5D6E
	s_waitcnt vmcnt(22)                                        // 0000000054F0: BF8C4F76
	v_mfma_f32_16x16x128_f8f6f4 v[104:107], a[48:55], v[120:127], 0// 0000000054F4: D3AD0068 0A02F130
	buffer_load_dwordx4 a[176:179], v36, s[92:95], 0 offen offset:2048// 0000000054FC: E05C1800 8097B024
	buffer_load_dwordx4 a[180:183], v36, s[92:95], 0 offen offset:3072// 000000005504: E05C1C00 8097B424
	buffer_load_dwordx4 a[184:187], v37, s[92:95], 0 offen offset:2048// 00000000550C: E05C1800 8097B825
	buffer_load_dwordx4 a[188:191], v37, s[92:95], 0 offen offset:3072// 000000005514: E05C1C00 8097BC25
	s_waitcnt vmcnt(24)                                        // 00000000551C: BF8C4F78
	v_mfma_f32_16x16x128_f8f6f4 v[108:111], a[56:63], v[120:127], 0// 000000005520: D3AD006C 0A02F138
	ds_read_b128 v[128:131], v2 offset:5376                    // 000000005528: D9FE1500 80000002
	ds_read_b128 v[132:135], v2 offset:5440                    // 000000005530: D9FE1540 84000002
	ds_read_b128 v[136:139], v2 offset:5888                    // 000000005538: D9FE1700 88000002
	ds_read_b128 v[140:143], v2 offset:5952                    // 000000005540: D9FE1740 8C000002
	ds_read_b32 v17, v3 offset:9728                            // 000000005548: D86C2600 11000003
	ds_read_b32 v18, v3 offset:9984                            // 000000005550: D86C2700 12000003
	v_mul_f32_dpp v46, v24, v16 row_newbcast:2 row_mask:0xf bank_mask:0xf// 000000005558: 0A5C20FA FF015218
	v_mov_b32_e32 v47, v46                                     // 000000005560: 7E5E032E
	v_pk_fma_f32 v[64:65], v[104:105], v[46:47], v[64:65]      // 000000005564: D3B04040 1D025D68
	v_pk_fma_f32 v[66:67], v[106:107], v[46:47], v[66:67]      // 00000000556C: D3B04042 1D0A5D6A
	v_pk_fma_f32 v[68:69], v[108:109], v[46:47], v[68:69]      // 000000005574: D3B04044 1D125D6C
	v_pk_fma_f32 v[70:71], v[110:111], v[46:47], v[70:71]      // 00000000557C: D3B04046 1D1A5D6E
	s_add_u32 s60, 0x300, s80                                  // 000000005584: 803C50FF 00000300
	s_cmp_lt_u32 s60, s81                                      // 00000000558C: BF0A513C
	s_cselect_b32 s57, s57, 0                                  // 000000005590: 85398039
	s_cselect_b32 s3, s3, 0                                    // 000000005594: 85038003
	s_add_u32 s60, 0x300, s80                                  // 000000005598: 803C50FF 00000300
	s_cmp_lt_u32 s60, s81                                      // 0000000055A0: BF0A513C
	s_cselect_b32 s58, s58, 0                                  // 0000000055A4: 853A803A
	s_cselect_b32 s90, s90, 0                                  // 0000000055A8: 855A805A
	s_add_u32 s20, s57, s20                                    // 0000000055AC: 80141439
	s_addc_u32 s21, 0, s21                                     // 0000000055B0: 82151580
	s_add_u32 s28, s3, s28                                     // 0000000055B4: 801C1C03
	s_addc_u32 s29, 0, s29                                     // 0000000055B8: 821D1D80
	s_add_u32 s24, s58, s24                                    // 0000000055BC: 8018183A
	s_addc_u32 s25, 0, s25                                     // 0000000055C0: 82191980
	s_add_u32 s92, s90, s92                                    // 0000000055C4: 805C5C5A
	s_addc_u32 s93, 0, s93                                     // 0000000055C8: 825D5D80
	s_addk_i32 s80, 0x100                                      // 0000000055CC: B7500100
	s_cmp_lt_i32 s80, s81                                      // 0000000055D0: BF045150
	s_cbranch_scc0 label_0B25                                  // 0000000055D4: BF84012F
	s_waitcnt vmcnt(34) lgkmcnt(0)                             // 0000000055D8: BF8C8072
	s_barrier                                                  // 0000000055DC: BF8A0000
	v_mfma_f32_16x16x128_f8f6f4 v[104:107], a[64:71], v[128:135], 0// 0000000055E0: D3AD0068 0A030140
	buffer_load_dwordx4 v34, s[20:23], 0 offen lds             // 0000000055E8: E05D1000 80050022
	s_add_u32 m0, m0, s76                                      // 0000000055F0: 807C4C7C
	buffer_load_dword v7, s[28:31], 0 offen lds                // 0000000055F4: E0511000 80070007
	s_add_u32 m0, 0, s51                                       // 0000000055FC: 807C3380
	buffer_load_dword v21, v11, s[32:35], 0 offen              // 000000005600: E0501000 8008150B
	buffer_load_dword v24, v13, s[32:35], 0 offen              // 000000005608: E0501000 8008180D
	buffer_load_dwordx4 a[0:3], v36, s[24:27], 0 offen         // 000000005610: E05C1000 80860024
	buffer_load_dwordx4 a[4:7], v36, s[24:27], 0 offen offset:1024// 000000005618: E05C1400 80860424
	buffer_load_dwordx4 a[8:11], v37, s[24:27], 0 offen        // 000000005620: E05C1000 80860825
	buffer_load_dwordx4 a[12:15], v37, s[24:27], 0 offen offset:1024// 000000005628: E05C1400 80860C25
	s_waitcnt vmcnt(34)                                        // 000000005630: BF8C8F72
	v_mfma_f32_16x16x128_f8f6f4 v[108:111], a[72:79], v[128:135], 0// 000000005634: D3AD006C 0A030148
	v_mul_f32_dpp v46, v22, v17 row_newbcast:0 row_mask:0xf bank_mask:0xf// 00000000563C: 0A5C22FA FF015016
	v_mov_b32_e32 v47, v46                                     // 000000005644: 7E5E032E
	v_pk_fma_f32 v[96:97], v[104:105], v[46:47], v[96:97]      // 000000005648: D3B04060 1D825D68
	v_pk_fma_f32 v[98:99], v[106:107], v[46:47], v[98:99]      // 000000005650: D3B04062 1D8A5D6A
	v_pk_fma_f32 v[100:101], v[108:109], v[46:47], v[100:101]  // 000000005658: D3B04064 1D925D6C
	v_pk_fma_f32 v[102:103], v[110:111], v[46:47], v[102:103]  // 000000005660: D3B04066 1D9A5D6E
	s_waitcnt vmcnt(32)                                        // 000000005668: BF8C8F70
	v_mfma_f32_16x16x128_f8f6f4 v[104:107], a[80:87], v[136:143], 0// 00000000566C: D3AD0068 0A031150
	buffer_load_dwordx4 a[16:19], v36, s[24:27], 0 offen offset:2048// 000000005674: E05C1800 80861024
	buffer_load_dwordx4 a[20:23], v36, s[24:27], 0 offen offset:3072// 00000000567C: E05C1C00 80861424
	buffer_load_dwordx4 a[24:27], v37, s[24:27], 0 offen offset:2048// 000000005684: E05C1800 80861825
	buffer_load_dwordx4 a[28:31], v37, s[24:27], 0 offen offset:3072// 00000000568C: E05C1C00 80861C25
	s_waitcnt vmcnt(34)                                        // 000000005694: BF8C8F72
	v_mfma_f32_16x16x128_f8f6f4 v[108:111], a[88:95], v[136:143], 0// 000000005698: D3AD006C 0A031158
	v_mul_f32_dpp v46, v22, v18 row_newbcast:2 row_mask:0xf bank_mask:0xf// 0000000056A0: 0A5C24FA FF015216
	v_mov_b32_e32 v47, v46                                     // 0000000056A8: 7E5E032E
	v_pk_fma_f32 v[96:97], v[104:105], v[46:47], v[96:97]      // 0000000056AC: D3B04060 1D825D68
	v_pk_fma_f32 v[98:99], v[106:107], v[46:47], v[98:99]      // 0000000056B4: D3B04062 1D8A5D6A
	v_pk_fma_f32 v[100:101], v[108:109], v[46:47], v[100:101]  // 0000000056BC: D3B04064 1D925D6C
	v_pk_fma_f32 v[102:103], v[110:111], v[46:47], v[102:103]  // 0000000056C4: D3B04066 1D9A5D6E
	s_add_u32 s60, 0x300, s80                                  // 0000000056CC: 803C50FF 00000300
	s_cmp_lt_u32 s60, s81                                      // 0000000056D4: BF0A513C
	s_cselect_b32 s4, s4, 0                                    // 0000000056D8: 85048004
	s_add_u32 s32, s4, s32                                     // 0000000056DC: 80202004
	s_addc_u32 s33, 0, s33                                     // 0000000056E0: 82212180
	s_waitcnt vmcnt(20)                                        // 0000000056E4: BF8C4F74
	s_barrier                                                  // 0000000056E8: BF8A0000
	v_mfma_f32_16x16x128_f8f6f4 v[104:107], a[96:103], v[128:135], 0// 0000000056EC: D3AD0068 0A030160
	buffer_load_dwordx4 a[32:35], v36, s[92:95], 0 offen       // 0000000056F4: E05C1000 80972024
	buffer_load_dwordx4 a[36:39], v36, s[92:95], 0 offen offset:1024// 0000000056FC: E05C1400 80972424
	buffer_load_dwordx4 a[40:43], v37, s[92:95], 0 offen       // 000000005704: E05C1000 80972825
	buffer_load_dwordx4 a[44:47], v37, s[92:95], 0 offen offset:1024// 00000000570C: E05C1400 80972C25
	s_waitcnt vmcnt(24)                                        // 000000005714: BF8C4F78
	v_mfma_f32_16x16x128_f8f6f4 v[108:111], a[104:111], v[128:135], 0// 000000005718: D3AD006C 0A030168
	v_mul_f32_dpp v46, v25, v17 row_newbcast:0 row_mask:0xf bank_mask:0xf// 000000005720: 0A5C22FA FF015019
	v_mov_b32_e32 v47, v46                                     // 000000005728: 7E5E032E
	v_pk_fma_f32 v[64:65], v[104:105], v[46:47], v[64:65]      // 00000000572C: D3B04040 1D025D68
	v_pk_fma_f32 v[66:67], v[106:107], v[46:47], v[66:67]      // 000000005734: D3B04042 1D0A5D6A
	v_pk_fma_f32 v[68:69], v[108:109], v[46:47], v[68:69]      // 00000000573C: D3B04044 1D125D6C
	v_pk_fma_f32 v[70:71], v[110:111], v[46:47], v[70:71]      // 000000005744: D3B04046 1D1A5D6E
	s_waitcnt vmcnt(22)                                        // 00000000574C: BF8C4F76
	v_mfma_f32_16x16x128_f8f6f4 v[104:107], a[112:119], v[136:143], 0// 000000005750: D3AD0068 0A031170
	buffer_load_dwordx4 a[48:51], v36, s[92:95], 0 offen offset:2048// 000000005758: E05C1800 80973024
	buffer_load_dwordx4 a[52:55], v36, s[92:95], 0 offen offset:3072// 000000005760: E05C1C00 80973424
	buffer_load_dwordx4 a[56:59], v37, s[92:95], 0 offen offset:2048// 000000005768: E05C1800 80973825
	buffer_load_dwordx4 a[60:63], v37, s[92:95], 0 offen offset:3072// 000000005770: E05C1C00 80973C25
	s_waitcnt vmcnt(24)                                        // 000000005778: BF8C4F78
	v_mfma_f32_16x16x128_f8f6f4 v[108:111], a[120:127], v[136:143], 0// 00000000577C: D3AD006C 0A031178
	ds_read_b128 v[144:147], v2 offset:10752                   // 000000005784: D9FE2A00 90000002
	ds_read_b128 v[148:151], v2 offset:10816                   // 00000000578C: D9FE2A40 94000002
	ds_read_b128 v[152:155], v2 offset:11264                   // 000000005794: D9FE2C00 98000002
	ds_read_b128 v[156:159], v2 offset:11328                   // 00000000579C: D9FE2C40 9C000002
	ds_read_b32 v19, v3 offset:15104                           // 0000000057A4: D86C3B00 13000003
	ds_read_b32 v20, v3 offset:15360                           // 0000000057AC: D86C3C00 14000003
	v_mul_f32_dpp v46, v25, v18 row_newbcast:2 row_mask:0xf bank_mask:0xf// 0000000057B4: 0A5C24FA FF015219
	v_mov_b32_e32 v47, v46                                     // 0000000057BC: 7E5E032E
	v_pk_fma_f32 v[64:65], v[104:105], v[46:47], v[64:65]      // 0000000057C0: D3B04040 1D025D68
	v_pk_fma_f32 v[66:67], v[106:107], v[46:47], v[66:67]      // 0000000057C8: D3B04042 1D0A5D6A
	v_pk_fma_f32 v[68:69], v[108:109], v[46:47], v[68:69]      // 0000000057D0: D3B04044 1D125D6C
	v_pk_fma_f32 v[70:71], v[110:111], v[46:47], v[70:71]      // 0000000057D8: D3B04046 1D1A5D6E
	s_add_u32 s60, 0x300, s80                                  // 0000000057E0: 803C50FF 00000300
	s_cmp_lt_u32 s60, s81                                      // 0000000057E8: BF0A513C
	s_cselect_b32 s57, s57, 0                                  // 0000000057EC: 85398039
	s_cselect_b32 s3, s3, 0                                    // 0000000057F0: 85038003
	s_add_u32 s60, 0x300, s80                                  // 0000000057F4: 803C50FF 00000300
	s_cmp_lt_u32 s60, s81                                      // 0000000057FC: BF0A513C
	s_cselect_b32 s58, s58, 0                                  // 000000005800: 853A803A
	s_cselect_b32 s90, s90, 0                                  // 000000005804: 855A805A
	s_add_u32 s20, s57, s20                                    // 000000005808: 80141439
	s_addc_u32 s21, 0, s21                                     // 00000000580C: 82151580
	s_add_u32 s28, s3, s28                                     // 000000005810: 801C1C03
	s_addc_u32 s29, 0, s29                                     // 000000005814: 821D1D80
	s_add_u32 s24, s58, s24                                    // 000000005818: 8018183A
	s_addc_u32 s25, 0, s25                                     // 00000000581C: 82191980
	s_add_u32 s92, s90, s92                                    // 000000005820: 805C5C5A
	s_addc_u32 s93, 0, s93                                     // 000000005824: 825D5D80
	s_addk_i32 s80, 0x100                                      // 000000005828: B7500100
	s_cmp_lt_i32 s80, s81                                      // 00000000582C: BF045150
	s_cbranch_scc0 label_0B25                                  // 000000005830: BF840098
	s_waitcnt vmcnt(34) lgkmcnt(0)                             // 000000005834: BF8C8072
	s_barrier                                                  // 000000005838: BF8A0000
	v_mfma_f32_16x16x128_f8f6f4 v[104:107], a[128:135], v[144:151], 0// 00000000583C: D3AD0068 0A032180
	buffer_load_dwordx4 v34, s[20:23], 0 offen lds             // 000000005844: E05D1000 80050022
	s_add_u32 m0, m0, s76                                      // 00000000584C: 807C4C7C
	buffer_load_dword v7, s[28:31], 0 offen lds                // 000000005850: E0511000 80070007
	s_add_u32 m0, 0, s52                                       // 000000005858: 807C3480
	buffer_load_dword v22, v11, s[32:35], 0 offen              // 00000000585C: E0501000 8008160B
	buffer_load_dword v25, v13, s[32:35], 0 offen              // 000000005864: E0501000 8008190D
	buffer_load_dwordx4 a[64:67], v36, s[24:27], 0 offen       // 00000000586C: E05C1000 80864024
	buffer_load_dwordx4 a[68:71], v36, s[24:27], 0 offen offset:1024// 000000005874: E05C1400 80864424
	buffer_load_dwordx4 a[72:75], v37, s[24:27], 0 offen       // 00000000587C: E05C1000 80864825
	buffer_load_dwordx4 a[76:79], v37, s[24:27], 0 offen offset:1024// 000000005884: E05C1400 80864C25
	s_waitcnt vmcnt(34)                                        // 00000000588C: BF8C8F72
	v_mfma_f32_16x16x128_f8f6f4 v[108:111], a[136:143], v[144:151], 0// 000000005890: D3AD006C 0A032188
	v_mul_f32_dpp v46, v23, v19 row_newbcast:0 row_mask:0xf bank_mask:0xf// 000000005898: 0A5C26FA FF015017
	v_mov_b32_e32 v47, v46                                     // 0000000058A0: 7E5E032E
	v_pk_fma_f32 v[96:97], v[104:105], v[46:47], v[96:97]      // 0000000058A4: D3B04060 1D825D68
	v_pk_fma_f32 v[98:99], v[106:107], v[46:47], v[98:99]      // 0000000058AC: D3B04062 1D8A5D6A
	v_pk_fma_f32 v[100:101], v[108:109], v[46:47], v[100:101]  // 0000000058B4: D3B04064 1D925D6C
	v_pk_fma_f32 v[102:103], v[110:111], v[46:47], v[102:103]  // 0000000058BC: D3B04066 1D9A5D6E
	s_waitcnt vmcnt(32)                                        // 0000000058C4: BF8C8F70
	v_mfma_f32_16x16x128_f8f6f4 v[104:107], a[144:151], v[152:159], 0// 0000000058C8: D3AD0068 0A033190
	buffer_load_dwordx4 a[80:83], v36, s[24:27], 0 offen offset:2048// 0000000058D0: E05C1800 80865024
	buffer_load_dwordx4 a[84:87], v36, s[24:27], 0 offen offset:3072// 0000000058D8: E05C1C00 80865424
	buffer_load_dwordx4 a[88:91], v37, s[24:27], 0 offen offset:2048// 0000000058E0: E05C1800 80865825
	buffer_load_dwordx4 a[92:95], v37, s[24:27], 0 offen offset:3072// 0000000058E8: E05C1C00 80865C25
	s_waitcnt vmcnt(34)                                        // 0000000058F0: BF8C8F72
	v_mfma_f32_16x16x128_f8f6f4 v[108:111], a[152:159], v[152:159], 0// 0000000058F4: D3AD006C 0A033198
	v_mul_f32_dpp v46, v23, v20 row_newbcast:2 row_mask:0xf bank_mask:0xf// 0000000058FC: 0A5C28FA FF015217
	v_mov_b32_e32 v47, v46                                     // 000000005904: 7E5E032E
	v_pk_fma_f32 v[96:97], v[104:105], v[46:47], v[96:97]      // 000000005908: D3B04060 1D825D68
	v_pk_fma_f32 v[98:99], v[106:107], v[46:47], v[98:99]      // 000000005910: D3B04062 1D8A5D6A
	v_pk_fma_f32 v[100:101], v[108:109], v[46:47], v[100:101]  // 000000005918: D3B04064 1D925D6C
	v_pk_fma_f32 v[102:103], v[110:111], v[46:47], v[102:103]  // 000000005920: D3B04066 1D9A5D6E
	s_add_u32 s60, 0x300, s80                                  // 000000005928: 803C50FF 00000300
	s_cmp_lt_u32 s60, s81                                      // 000000005930: BF0A513C
	s_cselect_b32 s4, s4, 0                                    // 000000005934: 85048004
	s_add_u32 s32, s4, s32                                     // 000000005938: 80202004
	s_addc_u32 s33, 0, s33                                     // 00000000593C: 82212180
	s_waitcnt vmcnt(20)                                        // 000000005940: BF8C4F74
	s_barrier                                                  // 000000005944: BF8A0000
	v_mfma_f32_16x16x128_f8f6f4 v[104:107], a[160:167], v[144:151], 0// 000000005948: D3AD0068 0A0321A0
	buffer_load_dwordx4 a[96:99], v36, s[92:95], 0 offen       // 000000005950: E05C1000 80976024
	buffer_load_dwordx4 a[100:103], v36, s[92:95], 0 offen offset:1024// 000000005958: E05C1400 80976424
	buffer_load_dwordx4 a[104:107], v37, s[92:95], 0 offen     // 000000005960: E05C1000 80976825
	buffer_load_dwordx4 a[108:111], v37, s[92:95], 0 offen offset:1024// 000000005968: E05C1400 80976C25
	s_waitcnt vmcnt(24)                                        // 000000005970: BF8C4F78
	v_mfma_f32_16x16x128_f8f6f4 v[108:111], a[168:175], v[144:151], 0// 000000005974: D3AD006C 0A0321A8
	v_mul_f32_dpp v46, v26, v19 row_newbcast:0 row_mask:0xf bank_mask:0xf// 00000000597C: 0A5C26FA FF01501A
	v_mov_b32_e32 v47, v46                                     // 000000005984: 7E5E032E
	v_pk_fma_f32 v[64:65], v[104:105], v[46:47], v[64:65]      // 000000005988: D3B04040 1D025D68
	v_pk_fma_f32 v[66:67], v[106:107], v[46:47], v[66:67]      // 000000005990: D3B04042 1D0A5D6A
	v_pk_fma_f32 v[68:69], v[108:109], v[46:47], v[68:69]      // 000000005998: D3B04044 1D125D6C
	v_pk_fma_f32 v[70:71], v[110:111], v[46:47], v[70:71]      // 0000000059A0: D3B04046 1D1A5D6E
	s_waitcnt vmcnt(22)                                        // 0000000059A8: BF8C4F76
	v_mfma_f32_16x16x128_f8f6f4 v[104:107], a[176:183], v[152:159], 0// 0000000059AC: D3AD0068 0A0331B0
	buffer_load_dwordx4 a[112:115], v36, s[92:95], 0 offen offset:2048// 0000000059B4: E05C1800 80977024
	buffer_load_dwordx4 a[116:119], v36, s[92:95], 0 offen offset:3072// 0000000059BC: E05C1C00 80977424
	buffer_load_dwordx4 a[120:123], v37, s[92:95], 0 offen offset:2048// 0000000059C4: E05C1800 80977825
	buffer_load_dwordx4 a[124:127], v37, s[92:95], 0 offen offset:3072// 0000000059CC: E05C1C00 80977C25
	s_waitcnt vmcnt(24)                                        // 0000000059D4: BF8C4F78
	v_mfma_f32_16x16x128_f8f6f4 v[108:111], a[184:191], v[152:159], 0// 0000000059D8: D3AD006C 0A0331B8
	ds_read_b128 v[112:115], v2                                // 0000000059E0: D9FE0000 70000002
	ds_read_b128 v[116:119], v2 offset:64                      // 0000000059E8: D9FE0040 74000002
	ds_read_b128 v[120:123], v2 offset:512                     // 0000000059F0: D9FE0200 78000002
	ds_read_b128 v[124:127], v2 offset:576                     // 0000000059F8: D9FE0240 7C000002
	ds_read_b32 v15, v3 offset:4352                            // 000000005A00: D86C1100 0F000003
	ds_read_b32 v16, v3 offset:4608                            // 000000005A08: D86C1200 10000003
	v_mul_f32_dpp v46, v26, v20 row_newbcast:2 row_mask:0xf bank_mask:0xf// 000000005A10: 0A5C28FA FF01521A
	v_mov_b32_e32 v47, v46                                     // 000000005A18: 7E5E032E
	v_pk_fma_f32 v[64:65], v[104:105], v[46:47], v[64:65]      // 000000005A1C: D3B04040 1D025D68
	v_pk_fma_f32 v[66:67], v[106:107], v[46:47], v[66:67]      // 000000005A24: D3B04042 1D0A5D6A
	v_pk_fma_f32 v[68:69], v[108:109], v[46:47], v[68:69]      // 000000005A2C: D3B04044 1D125D6C
	v_pk_fma_f32 v[70:71], v[110:111], v[46:47], v[70:71]      // 000000005A34: D3B04046 1D1A5D6E
	s_add_u32 s60, 0x300, s80                                  // 000000005A3C: 803C50FF 00000300
	s_cmp_lt_u32 s60, s81                                      // 000000005A44: BF0A513C
	s_cselect_b32 s57, s57, 0                                  // 000000005A48: 85398039
	s_cselect_b32 s3, s3, 0                                    // 000000005A4C: 85038003
	s_add_u32 s60, 0x300, s80                                  // 000000005A50: 803C50FF 00000300
	s_cmp_lt_u32 s60, s81                                      // 000000005A58: BF0A513C
	s_cselect_b32 s58, s58, 0                                  // 000000005A5C: 853A803A
	s_cselect_b32 s90, s90, 0                                  // 000000005A60: 855A805A
	s_add_u32 s20, s57, s20                                    // 000000005A64: 80141439
	s_addc_u32 s21, 0, s21                                     // 000000005A68: 82151580
	s_add_u32 s28, s3, s28                                     // 000000005A6C: 801C1C03
	s_addc_u32 s29, 0, s29                                     // 000000005A70: 821D1D80
	s_add_u32 s24, s58, s24                                    // 000000005A74: 8018183A
	s_addc_u32 s25, 0, s25                                     // 000000005A78: 82191980
	s_add_u32 s92, s90, s92                                    // 000000005A7C: 805C5C5A
	s_addc_u32 s93, 0, s93                                     // 000000005A80: 825D5D80
	s_addk_i32 s80, 0x100                                      // 000000005A84: B7500100
	s_cmp_lt_i32 s80, s81                                      // 000000005A88: BF045150
	s_cbranch_scc0 label_0B25                                  // 000000005A8C: BF840001
	s_branch label_095F                                        // 000000005A90: BF82FE3A

0000000000005a94 <label_0B25>:
	s_mov_b32 s20, 0                                           // 000000005A94: BE940080
	s_cmp_lt_u32 s89, s66                                      // 000000005A98: BF0A4259
	s_cselect_b32 s60, 0, 1                                    // 000000005A9C: 853C8180
	s_lshl1_add_u32 s20, s20, s60                              // 000000005AA0: 97143C14
	s_cmp_lt_u32 s88, s66                                      // 000000005AA4: BF0A4258
	s_cselect_b32 s60, 0, 1                                    // 000000005AA8: 853C8180
	s_lshl1_add_u32 s20, s20, s60                              // 000000005AAC: 97143C14
	s_cmp_lt_u32 s87, s66                                      // 000000005AB0: BF0A4257
	s_cselect_b32 s60, 0, 1                                    // 000000005AB4: 853C8180
	s_lshl1_add_u32 s20, s20, s60                              // 000000005AB8: 97143C14
	s_cmp_lt_u32 s86, s66                                      // 000000005ABC: BF0A4256
	s_cselect_b32 s60, 0, 1                                    // 000000005AC0: 853C8180
	s_lshl1_add_u32 s20, s20, s60                              // 000000005AC4: 97143C14
	s_cmp_lt_u32 s85, s66                                      // 000000005AC8: BF0A4255
	s_cselect_b32 s60, 0, 1                                    // 000000005ACC: 853C8180
	s_lshl1_add_u32 s20, s20, s60                              // 000000005AD0: 97143C14
	s_cmp_lt_u32 s84, s66                                      // 000000005AD4: BF0A4254
	s_cselect_b32 s60, 0, 1                                    // 000000005AD8: 853C8180
	s_lshl1_add_u32 s20, s20, s60                              // 000000005ADC: 97143C14
	s_cmp_lt_u32 s83, s66                                      // 000000005AE0: BF0A4253
	s_cselect_b32 s60, 0, 1                                    // 000000005AE4: 853C8180
	s_lshl1_add_u32 s20, s20, s60                              // 000000005AE8: 97143C14
	s_cmp_lt_u32 s82, s66                                      // 000000005AEC: BF0A4252
	s_cselect_b32 s60, 0, 1                                    // 000000005AF0: 853C8180
	s_lshl1_add_u32 s20, s20, s60                              // 000000005AF4: 97143C14
	s_waitcnt vmcnt(4)                                         // 000000005AF8: BF8C0F74
	buffer_load_dword v21, v6, s[16:19], 0 offen               // 000000005AFC: E0501000 80041506
	s_add_u32 s16, s79, s16                                    // 000000005B04: 8010104F
	s_addc_u32 s17, 0, s17                                     // 000000005B08: 82111180
	buffer_load_dwordx4 a[0:3], v38, s[12:15], 0 offen         // 000000005B0C: E05C1000 80830026
	buffer_load_dwordx4 a[4:7], v38, s[12:15], 0 offen offset:1024// 000000005B14: E05C1400 80830426
	buffer_load_dwordx4 a[8:11], v39, s[12:15], 0 offen        // 000000005B1C: E05C1000 80830827
	buffer_load_dwordx4 a[12:15], v39, s[12:15], 0 offen offset:1024// 000000005B24: E05C1400 80830C27
	v_mul_f32_e32 v46, v96, v96                                // 000000005B2C: 0A5CC160
	v_mul_f32_e32 v47, v97, v97                                // 000000005B30: 0A5EC361
	v_mul_f32_e32 v48, v98, v98                                // 000000005B34: 0A60C562
	v_mul_f32_e32 v49, v99, v99                                // 000000005B38: 0A62C763
	v_fma_f32 v46, v46, s77, v1                                // 000000005B3C: D1CB002E 04049B2E
	v_fma_f32 v47, v47, s77, v1                                // 000000005B44: D1CB002F 04049B2F
	v_fma_f32 v48, v48, s77, v1                                // 000000005B4C: D1CB0030 04049B30
	v_fma_f32 v49, v49, s77, v1                                // 000000005B54: D1CB0031 04049B31
	v_mul_f32_e32 v46, v46, v96                                // 000000005B5C: 0A5CC12E
	v_mul_f32_e32 v47, v47, v97                                // 000000005B60: 0A5EC32F
	v_mul_f32_e32 v48, v48, v98                                // 000000005B64: 0A60C530
	v_mul_f32_e32 v49, v49, v99                                // 000000005B68: 0A62C731
	v_mul_f32_e64 v46, v46, s6                                 // 000000005B6C: D105002E 00000D2E
	v_mul_f32_e64 v47, v47, s6                                 // 000000005B74: D105002F 00000D2F
	v_mul_f32_e64 v48, v48, s6                                 // 000000005B7C: D1050030 00000D30
	v_mul_f32_e64 v49, v49, s6                                 // 000000005B84: D1050031 00000D31
	v_exp_f32_e32 v46, v46                                     // 000000005B8C: 7E5C412E
	v_exp_f32_e32 v47, v47                                     // 000000005B90: 7E5E412F
	v_exp_f32_e32 v48, v48                                     // 000000005B94: 7E604130
	v_exp_f32_e32 v49, v49                                     // 000000005B98: 7E624131
	buffer_load_dwordx4 a[16:19], v40, s[12:15], 0 offen       // 000000005B9C: E05C1000 80831028
	buffer_load_dwordx4 a[20:23], v40, s[12:15], 0 offen offset:1024// 000000005BA4: E05C1400 80831428
	buffer_load_dwordx4 a[24:27], v41, s[12:15], 0 offen       // 000000005BAC: E05C1000 80831829
	buffer_load_dwordx4 a[28:31], v41, s[12:15], 0 offen offset:1024// 000000005BB4: E05C1400 80831C29
	s_add_u32 s12, s56, s12                                    // 000000005BBC: 800C0C38
	s_addc_u32 s13, 0, s13                                     // 000000005BC0: 820D0D80
	v_add_f32_e64 v46, v46, 1.0                                // 000000005BC4: D101002E 0001E52E
	v_add_f32_e64 v47, v47, 1.0                                // 000000005BCC: D101002F 0001E52F
	v_add_f32_e64 v48, v48, 1.0                                // 000000005BD4: D1010030 0001E530
	v_add_f32_e64 v49, v49, 1.0                                // 000000005BDC: D1010031 0001E531
	v_rcp_f32_e32 v46, v46                                     // 000000005BE4: 7E5C452E
	v_rcp_f32_e32 v47, v47                                     // 000000005BE8: 7E5E452F
	v_rcp_f32_e32 v48, v48                                     // 000000005BEC: 7E604530
	v_rcp_f32_e32 v49, v49                                     // 000000005BF0: 7E624531
	v_mul_f32_e32 v96, v96, v46                                // 000000005BF4: 0AC05D60
	v_mul_f32_e32 v97, v97, v47                                // 000000005BF8: 0AC25F61
	v_mul_f32_e32 v98, v98, v48                                // 000000005BFC: 0AC46162
	v_mul_f32_e32 v99, v99, v49                                // 000000005C00: 0AC66363
	v_mul_f32_e32 v96, v96, v64                                // 000000005C04: 0AC08160
	v_mul_f32_e32 v97, v97, v65                                // 000000005C08: 0AC28361
	v_mul_f32_e32 v98, v98, v66                                // 000000005C0C: 0AC48562
	v_mul_f32_e32 v99, v99, v67                                // 000000005C10: 0AC68763
	s_waitcnt vmcnt(4)                                         // 000000005C14: BF8C0F74
	buffer_load_dword v22, v6, s[16:19], 0 offen               // 000000005C18: E0501000 80041606
	s_add_u32 s16, s79, s16                                    // 000000005C20: 8010104F
	s_addc_u32 s17, 0, s17                                     // 000000005C24: 82111180
	buffer_load_dwordx4 a[32:35], v38, s[12:15], 0 offen       // 000000005C28: E05C1000 80832026
	buffer_load_dwordx4 a[36:39], v38, s[12:15], 0 offen offset:1024// 000000005C30: E05C1400 80832426
	buffer_load_dwordx4 a[40:43], v39, s[12:15], 0 offen       // 000000005C38: E05C1000 80832827
	buffer_load_dwordx4 a[44:47], v39, s[12:15], 0 offen offset:1024// 000000005C40: E05C1400 80832C27
	v_mul_f32_e32 v46, v100, v100                              // 000000005C48: 0A5CC964
	v_mul_f32_e32 v47, v101, v101                              // 000000005C4C: 0A5ECB65
	v_mul_f32_e32 v48, v102, v102                              // 000000005C50: 0A60CD66
	v_mul_f32_e32 v49, v103, v103                              // 000000005C54: 0A62CF67
	v_fma_f32 v46, v46, s77, v1                                // 000000005C58: D1CB002E 04049B2E
	v_fma_f32 v47, v47, s77, v1                                // 000000005C60: D1CB002F 04049B2F
	v_fma_f32 v48, v48, s77, v1                                // 000000005C68: D1CB0030 04049B30
	v_fma_f32 v49, v49, s77, v1                                // 000000005C70: D1CB0031 04049B31
	v_mul_f32_e32 v46, v46, v100                               // 000000005C78: 0A5CC92E
	v_mul_f32_e32 v47, v47, v101                               // 000000005C7C: 0A5ECB2F
	v_mul_f32_e32 v48, v48, v102                               // 000000005C80: 0A60CD30
	v_mul_f32_e32 v49, v49, v103                               // 000000005C84: 0A62CF31
	v_mul_f32_e64 v46, v46, s6                                 // 000000005C88: D105002E 00000D2E
	v_mul_f32_e64 v47, v47, s6                                 // 000000005C90: D105002F 00000D2F
	v_mul_f32_e64 v48, v48, s6                                 // 000000005C98: D1050030 00000D30
	v_mul_f32_e64 v49, v49, s6                                 // 000000005CA0: D1050031 00000D31
	v_exp_f32_e32 v46, v46                                     // 000000005CA8: 7E5C412E
	v_exp_f32_e32 v47, v47                                     // 000000005CAC: 7E5E412F
	v_exp_f32_e32 v48, v48                                     // 000000005CB0: 7E604130
	v_exp_f32_e32 v49, v49                                     // 000000005CB4: 7E624131
	buffer_load_dwordx4 a[48:51], v40, s[12:15], 0 offen       // 000000005CB8: E05C1000 80833028
	buffer_load_dwordx4 a[52:55], v40, s[12:15], 0 offen offset:1024// 000000005CC0: E05C1400 80833428
	buffer_load_dwordx4 a[56:59], v41, s[12:15], 0 offen       // 000000005CC8: E05C1000 80833829
	buffer_load_dwordx4 a[60:63], v41, s[12:15], 0 offen offset:1024// 000000005CD0: E05C1400 80833C29
	s_add_u32 s12, s56, s12                                    // 000000005CD8: 800C0C38
	s_addc_u32 s13, 0, s13                                     // 000000005CDC: 820D0D80
	v_add_f32_e64 v46, v46, 1.0                                // 000000005CE0: D101002E 0001E52E
	v_add_f32_e64 v47, v47, 1.0                                // 000000005CE8: D101002F 0001E52F
	v_add_f32_e64 v48, v48, 1.0                                // 000000005CF0: D1010030 0001E530
	v_add_f32_e64 v49, v49, 1.0                                // 000000005CF8: D1010031 0001E531
	v_rcp_f32_e32 v46, v46                                     // 000000005D00: 7E5C452E
	v_rcp_f32_e32 v47, v47                                     // 000000005D04: 7E5E452F
	v_rcp_f32_e32 v48, v48                                     // 000000005D08: 7E604530
	v_rcp_f32_e32 v49, v49                                     // 000000005D0C: 7E624531
	v_mul_f32_e32 v100, v100, v46                              // 000000005D10: 0AC85D64
	v_mul_f32_e32 v101, v101, v47                              // 000000005D14: 0ACA5F65
	v_mul_f32_e32 v102, v102, v48                              // 000000005D18: 0ACC6166
	v_mul_f32_e32 v103, v103, v49                              // 000000005D1C: 0ACE6367
	v_mul_f32_e32 v100, v100, v68                              // 000000005D20: 0AC88964
	v_mul_f32_e32 v101, v101, v69                              // 000000005D24: 0ACA8B65
	v_mul_f32_e32 v102, v102, v70                              // 000000005D28: 0ACC8D66
	v_mul_f32_e32 v103, v103, v71                              // 000000005D2C: 0ACE8F67
	v_lshlrev_b32_e32 v46, 2, v0                               // 000000005D30: 245C0082
	s_mul_i32 s60, s82, s71                                    // 000000005D34: 923C4752
	v_add_u32_e64 v80, v46, s60                                // 000000005D38: D1340050 0000792E
	v_mov_b32_e32 v81, 0                                       // 000000005D40: 7EA20280
	s_mul_i32 s60, s83, s71                                    // 000000005D44: 923C4753
	v_add_u32_e64 v82, v46, s60                                // 000000005D48: D1340052 0000792E
	v_mov_b32_e32 v83, 0                                       // 000000005D50: 7EA60280
	s_mul_i32 s60, s84, s71                                    // 000000005D54: 923C4754
	v_add_u32_e64 v84, v46, s60                                // 000000005D58: D1340054 0000792E
	v_mov_b32_e32 v85, 0                                       // 000000005D60: 7EAA0280
	s_mul_i32 s60, s85, s71                                    // 000000005D64: 923C4755
	v_add_u32_e64 v86, v46, s60                                // 000000005D68: D1340056 0000792E
	v_mov_b32_e32 v87, 0                                       // 000000005D70: 7EAE0280
	v_mov_b32_e32 v30, 0x358637bd                              // 000000005D74: 7E3C02FF 358637BD
	v_max3_f32 v30, |v96|, |v97|, v30                          // 000000005D7C: D1D3031E 047AC360
	v_max3_f32 v30, |v98|, |v99|, v30                          // 000000005D84: D1D3031E 047AC762
	v_max3_f32 v30, |v100|, |v101|, v30                        // 000000005D8C: D1D3031E 047ACB64
	v_max3_f32 v30, |v102|, |v103|, v30                        // 000000005D94: D1D3031E 047ACF66
	v_mov_b32_e32 v46, v30                                     // 000000005D9C: 7E5C031E
	s_nop 1                                                    // 000000005DA0: BF800001
	v_permlane32_swap_b32_e32 v46, v30                         // 000000005DA4: 7E5CB51E
	v_max_f32_e32 v30, v46, v30                                // 000000005DA8: 163C3D2E
	v_mov_b32_e32 v46, v30                                     // 000000005DAC: 7E5C031E
	s_nop 1                                                    // 000000005DB0: BF800001
	v_permlane16_swap_b32_e32 v46, v30                         // 000000005DB4: 7E5CB31E
	v_max_f32_e32 v30, v46, v30                                // 000000005DB8: 163C3D2E
	v_lshlrev_b32_e32 v46, 2, v0                               // 000000005DBC: 245C0082
	s_mul_i32 s60, 64, s7                                      // 000000005DC0: 923C07C0
	v_add_u32_e32 v46, s60, v46                                // 000000005DC4: 685C5C3C
	s_mov_b32 s60, 0xffff                                      // 000000005DC8: BEBC00FF 0000FFFF
	s_mov_b32 s61, 0                                           // 000000005DD0: BEBD0080
	s_mov_b64 exec, s[60:61]                                   // 000000005DD4: BEFE013C
	ds_write_b32 v46, v30 offset:16128                         // 000000005DD8: D81A3F00 00001E2E
	s_mov_b32 s60, -1                                          // 000000005DE0: BEBC00C1
	s_mov_b32 s61, -1                                          // 000000005DE4: BEBD00C1
	s_mov_b64 exec, s[60:61]                                   // 000000005DE8: BEFE013C
	s_waitcnt lgkmcnt(0)                                       // 000000005DEC: BF8CC07F
	s_barrier                                                  // 000000005DF0: BF8A0000
	v_lshlrev_b32_e32 v46, 2, v0                               // 000000005DF4: 245C0082
	ds_read_b32 v104, v46 offset:16128                         // 000000005DF8: D86C3F00 6800002E
	s_waitcnt lgkmcnt(0)                                       // 000000005E00: BF8CC07F
	v_mov_b32_e32 v46, v104                                    // 000000005E04: 7E5C0368
	s_nop 1                                                    // 000000005E08: BF800001
	v_permlane32_swap_b32_e32 v46, v104                        // 000000005E0C: 7E5CB568
	v_max_f32_e32 v104, v46, v104                              // 000000005E10: 16D0D12E
	v_mov_b32_e32 v46, v104                                    // 000000005E14: 7E5C0368
	s_nop 1                                                    // 000000005E18: BF800001
	v_permlane16_swap_b32_e32 v46, v104                        // 000000005E1C: 7E5CB368
	v_max_f32_e32 v104, v46, v104                              // 000000005E20: 16D0D12E
	v_max_f32_e32 v30, v104, v30                               // 000000005E24: 163C3D68
	v_rcp_f32_e32 v30, v30                                     // 000000005E28: 7E3C451E
	v_mov_b32_e32 v46, 0x43e00000                              // 000000005E2C: 7E5C02FF 43E00000
	v_mul_f32_e32 v30, v46, v30                                // 000000005E34: 0A3C3D2E
	v_mul_f32_e32 v96, v30, v96                                // 000000005E38: 0AC0C11E
	v_mul_f32_e32 v97, v30, v97                                // 000000005E3C: 0AC2C31E
	v_mul_f32_e32 v98, v30, v98                                // 000000005E40: 0AC4C51E
	v_mul_f32_e32 v99, v30, v99                                // 000000005E44: 0AC6C71E
	v_cvt_pk_fp8_f32 v96, v96, v97                             // 000000005E48: D2A20060 0002C360
	v_cvt_pk_fp8_f32 v96, v98, v99 op_sel:[0,0,1]              // 000000005E50: D2A24060 0002C762
	v_mul_f32_e32 v100, v30, v100                              // 000000005E58: 0AC8C91E
	v_mul_f32_e32 v101, v30, v101                              // 000000005E5C: 0ACACB1E
	v_mul_f32_e32 v102, v30, v102                              // 000000005E60: 0ACCCD1E
	v_mul_f32_e32 v103, v30, v103                              // 000000005E64: 0ACECF1E
	v_cvt_pk_fp8_f32 v97, v100, v101                           // 000000005E68: D2A20061 0002CB64
	v_cvt_pk_fp8_f32 v97, v102, v103 op_sel:[0,0,1]            // 000000005E70: D2A24061 0002CF66
	v_rcp_f32_e32 v32, v30                                     // 000000005E78: 7E40451E
	v_lshrrev_b32_e32 v46, 5, v0                               // 000000005E7C: 205C0085
	v_lshlrev_b32_e32 v47, 6, v46                              // 000000005E80: 245E5C86
	v_and_b32_e32 v46, 31, v0                                  // 000000005E84: 265C009F
	v_lshrrev_b32_e32 v48, 4, v46                              // 000000005E88: 20605C84
	v_add_u32_e32 v47, v48, v47                                // 000000005E8C: 685E5F30
	v_and_b32_e32 v46, 15, v0                                  // 000000005E90: 265C008F
	v_lshlrev_b32_e32 v46, 1, v46                              // 000000005E94: 245C5C81
	v_add_u32_e32 v47, v46, v47                                // 000000005E98: 685E5F2E
	v_lshlrev_b32_e32 v46, 2, v47                              // 000000005E9C: 245C5E82
	s_mov_b32 s60, 0                                           // 000000005EA0: BEBC0080
	s_lshr_b32 s61, s7, 1                                      // 000000005EA4: 8F3D8107
	s_mul_i32 s61, s61, 0x200                                  // 000000005EA8: 923DFF3D 00000200
	s_add_u32 s60, s61, s60                                    // 000000005EB0: 803C3C3D
	s_and_b32 s61, s7, 1                                       // 000000005EB4: 863D8107
	s_mul_i32 s61, s61, 0x80                                   // 000000005EB8: 923DFF3D 00000080
	s_add_u32 s60, s61, s60                                    // 000000005EC0: 803C3C3D
	v_add_u32_e64 v46, v46, s60                                // 000000005EC4: D134002E 0000792E
	ds_write_b32 v46, v96 offset:17152                         // 000000005ECC: D81A4300 0000602E
	ds_write_b32 v46, v97 offset:18176                         // 000000005ED4: D81A4700 0000612E
	s_waitcnt lgkmcnt(0)                                       // 000000005EDC: BF8CC07F
	s_barrier                                                  // 000000005EE0: BF8A0000
	v_and_b32_e32 v46, 31, v0                                  // 000000005EE4: 265C009F
	v_lshrrev_b32_e32 v46, 4, v46                              // 000000005EE8: 205C5C84
	v_lshlrev_b32_e32 v47, 5, v46                              // 000000005EEC: 245E5C85
	v_lshrrev_b32_e32 v46, 5, v0                               // 000000005EF0: 205C0085
	v_lshlrev_b32_e32 v46, 7, v46                              // 000000005EF4: 245C5C87
	v_add_u32_e32 v47, v46, v47                                // 000000005EF8: 685E5F2E
	v_and_b32_e32 v46, 15, v0                                  // 000000005EFC: 265C008F
	v_lshlrev_b32_e32 v46, 1, v46                              // 000000005F00: 245C5C81
	v_add_u32_e32 v47, v46, v47                                // 000000005F04: 685E5F2E
	v_lshlrev_b32_e32 v46, 2, v47                              // 000000005F08: 245C5E82
	ds_read_b64 v[96:97], v46 offset:17152                     // 000000005F0C: D8EC4300 6000002E
	ds_read_b64 v[98:99], v46 offset:17408                     // 000000005F14: D8EC4400 6200002E
	ds_read_b64 v[100:101], v46 offset:18176                   // 000000005F1C: D8EC4700 6400002E
	ds_read_b64 v[102:103], v46 offset:18432                   // 000000005F24: D8EC4800 6600002E
	s_waitcnt lgkmcnt(0)                                       // 000000005F2C: BF8CC07F
	s_barrier                                                  // 000000005F30: BF8A0000
	v_mov_b32_e32 v112, 0                                      // 000000005F34: 7EE00280
	v_mov_b32_e32 v128, 0                                      // 000000005F38: 7F000280
	v_mov_b32_e32 v113, 0                                      // 000000005F3C: 7EE20280
	v_mov_b32_e32 v129, 0                                      // 000000005F40: 7F020280
	v_mov_b32_e32 v114, 0                                      // 000000005F44: 7EE40280
	v_mov_b32_e32 v130, 0                                      // 000000005F48: 7F040280
	v_mov_b32_e32 v115, 0                                      // 000000005F4C: 7EE60280
	v_mov_b32_e32 v131, 0                                      // 000000005F50: 7F060280
	v_mov_b32_e32 v116, 0                                      // 000000005F54: 7EE80280
	v_mov_b32_e32 v132, 0                                      // 000000005F58: 7F080280
	v_mov_b32_e32 v117, 0                                      // 000000005F5C: 7EEA0280
	v_mov_b32_e32 v133, 0                                      // 000000005F60: 7F0A0280
	v_mov_b32_e32 v118, 0                                      // 000000005F64: 7EEC0280
	v_mov_b32_e32 v134, 0                                      // 000000005F68: 7F0C0280
	v_mov_b32_e32 v119, 0                                      // 000000005F6C: 7EEE0280
	v_mov_b32_e32 v135, 0                                      // 000000005F70: 7F0E0280
	v_mov_b32_e32 v120, 0                                      // 000000005F74: 7EF00280
	v_mov_b32_e32 v136, 0                                      // 000000005F78: 7F100280
	v_mov_b32_e32 v121, 0                                      // 000000005F7C: 7EF20280
	v_mov_b32_e32 v137, 0                                      // 000000005F80: 7F120280
	v_mov_b32_e32 v122, 0                                      // 000000005F84: 7EF40280
	v_mov_b32_e32 v138, 0                                      // 000000005F88: 7F140280
	v_mov_b32_e32 v123, 0                                      // 000000005F8C: 7EF60280
	v_mov_b32_e32 v139, 0                                      // 000000005F90: 7F160280
	v_mov_b32_e32 v124, 0                                      // 000000005F94: 7EF80280
	v_mov_b32_e32 v140, 0                                      // 000000005F98: 7F180280
	v_mov_b32_e32 v125, 0                                      // 000000005F9C: 7EFA0280
	v_mov_b32_e32 v141, 0                                      // 000000005FA0: 7F1A0280
	v_mov_b32_e32 v126, 0                                      // 000000005FA4: 7EFC0280
	v_mov_b32_e32 v142, 0                                      // 000000005FA8: 7F1C0280
	v_mov_b32_e32 v127, 0                                      // 000000005FAC: 7EFE0280
	v_mov_b32_e32 v143, 0                                      // 000000005FB0: 7F1E0280
	ds_write_b64 v4, v[112:113] offset:17152                   // 000000005FB4: D89A4300 00007004
	ds_write_b64 v4, v[114:115] offset:19328                   // 000000005FBC: D89A4B80 00007204
	ds_write_b64 v4, v[116:117] offset:21504                   // 000000005FC4: D89A5400 00007404
	ds_write_b64 v4, v[118:119] offset:23680                   // 000000005FCC: D89A5C80 00007604
	s_mov_b32 s80, 0                                           // 000000005FD4: BED00080

0000000000005fd8 <label_0C76>:
	s_waitcnt vmcnt(13) lgkmcnt(0)                             // 000000005FD8: BF8C007D
	s_barrier                                                  // 000000005FDC: BF8A0000
	v_mfma_f32_16x16x128_f8f6f4 v[112:115], a[0:7], v[96:103], 0// 000000005FE0: D3AD0070 0A02C100
	buffer_load_dword v23, v6, s[16:19], 0 offen               // 000000005FE8: E0501000 80041706
	buffer_load_dwordx4 a[64:67], v38, s[12:15], 0 offen       // 000000005FF0: E05C1000 80834026
	buffer_load_dwordx4 a[68:71], v38, s[12:15], 0 offen offset:1024// 000000005FF8: E05C1400 80834426
	buffer_load_dwordx4 a[72:75], v39, s[12:15], 0 offen       // 000000006000: E05C1000 80834827
	buffer_load_dwordx4 a[76:79], v39, s[12:15], 0 offen offset:1024// 000000006008: E05C1400 80834C27
	v_mfma_f32_16x16x128_f8f6f4 v[116:119], a[8:15], v[96:103], 0// 000000006010: D3AD0074 0A02C108
	ds_read_b32 v64, v5 offset:17152                           // 000000006018: D86C4300 40000005
	ds_read_b32 v65, v5 offset:21504                           // 000000006020: D86C5400 41000005
	ds_read_b32 v66, v5 offset:17160                           // 000000006028: D86C4308 42000005
	ds_read_b32 v67, v5 offset:21512                           // 000000006030: D86C5408 43000005
	ds_read_b32 v68, v5 offset:17184                           // 000000006038: D86C4320 44000005
	ds_read_b32 v69, v5 offset:21536                           // 000000006040: D86C5420 45000005
	ds_read_b32 v70, v5 offset:17192                           // 000000006048: D86C4328 46000005
	ds_read_b32 v71, v5 offset:21544                           // 000000006050: D86C5428 47000005
	s_waitcnt vmcnt(13)                                        // 000000006058: BF8C0F7D
	v_mfma_f32_16x16x128_f8f6f4 v[120:123], a[16:23], v[96:103], 0// 00000000605C: D3AD0078 0A02C110
	buffer_load_dwordx4 a[80:83], v40, s[12:15], 0 offen       // 000000006064: E05C1000 80835028
	buffer_load_dwordx4 a[84:87], v40, s[12:15], 0 offen offset:1024// 00000000606C: E05C1400 80835428
	buffer_load_dwordx4 a[88:91], v41, s[12:15], 0 offen       // 000000006074: E05C1000 80835829
	buffer_load_dwordx4 a[92:95], v41, s[12:15], 0 offen offset:1024// 00000000607C: E05C1400 80835C29
	v_mfma_f32_16x16x128_f8f6f4 v[124:127], a[24:31], v[96:103], 0// 000000006084: D3AD007C 0A02C118
	ds_write_b64 v4, v[128:129] offset:34560                   // 00000000608C: D89A8700 00008004
	ds_write_b64 v4, v[130:131] offset:36736                   // 000000006094: D89A8F80 00008204
	ds_write_b64 v4, v[132:133] offset:38912                   // 00000000609C: D89A9800 00008404
	ds_write_b64 v4, v[134:135] offset:41088                   // 0000000060A4: D89AA080 00008604
	v_mul_f32_dpp v46, v21, v32 row_newbcast:0 row_mask:0xf bank_mask:0xf// 0000000060AC: 0A5C40FA FF015015
	v_mov_b32_e32 v47, v46                                     // 0000000060B4: 7E5E032E
	v_pk_mul_f32 v[112:113], v[46:47], v[112:113]              // 0000000060B8: D3B14070 1802E12E
	v_pk_mul_f32 v[114:115], v[46:47], v[114:115]              // 0000000060C0: D3B14072 1802E52E
	v_pk_mul_f32 v[116:117], v[46:47], v[116:117]              // 0000000060C8: D3B14074 1802E92E
	v_pk_mul_f32 v[118:119], v[46:47], v[118:119]              // 0000000060D0: D3B14076 1802ED2E
	v_mul_f32_dpp v46, v21, v32 row_newbcast:1 row_mask:0xf bank_mask:0xf// 0000000060D8: 0A5C40FA FF015115
	v_mov_b32_e32 v47, v46                                     // 0000000060E0: 7E5E032E
	v_pk_mul_f32 v[120:121], v[46:47], v[120:121]              // 0000000060E4: D3B14078 1802F12E
	v_pk_mul_f32 v[122:123], v[46:47], v[122:123]              // 0000000060EC: D3B1407A 1802F52E
	v_pk_mul_f32 v[124:125], v[46:47], v[124:125]              // 0000000060F4: D3B1407C 1802F92E
	v_pk_mul_f32 v[126:127], v[46:47], v[126:127]              // 0000000060FC: D3B1407E 1802FD2E
	s_add_u32 s60, 0x300, s80                                  // 000000006104: 803C50FF 00000300
	s_cmp_lt_u32 s60, s81                                      // 00000000610C: BF0A513C
	s_cselect_b32 s56, s56, 0                                  // 000000006110: 85388038
	s_cselect_b32 s78, s78, 0                                  // 000000006114: 854E804E
	s_cselect_b32 s79, s79, 0                                  // 000000006118: 854F804F
	s_add_u32 s12, s56, s12                                    // 00000000611C: 800C0C38
	s_addc_u32 s13, 0, s13                                     // 000000006120: 820D0D80
	s_add_u32 s16, s79, s16                                    // 000000006124: 8010104F
	s_addc_u32 s17, 0, s17                                     // 000000006128: 82111180
	v_mov_b32_e32 v46, v27                                     // 00000000612C: 7E5C031B
	v_mov_b32_e32 v47, v27                                     // 000000006130: 7E5E031B
	v_pk_mul_f32 v[112:113], v[46:47], v[112:113]              // 000000006134: D3B14070 1802E12E
	v_pk_mul_f32 v[114:115], v[46:47], v[114:115]              // 00000000613C: D3B14072 1802E52E
	v_pk_mul_f32 v[116:117], v[46:47], v[116:117]              // 000000006144: D3B14074 1802E92E
	v_pk_mul_f32 v[118:119], v[46:47], v[118:119]              // 00000000614C: D3B14076 1802ED2E
	v_pk_mul_f32 v[120:121], v[46:47], v[120:121]              // 000000006154: D3B14078 1802F12E
	v_pk_mul_f32 v[122:123], v[46:47], v[122:123]              // 00000000615C: D3B1407A 1802F52E
	v_pk_mul_f32 v[124:125], v[46:47], v[124:125]              // 000000006164: D3B1407C 1802F92E
	v_pk_mul_f32 v[126:127], v[46:47], v[126:127]              // 00000000616C: D3B1407E 1802FD2E
	v_cvt_pk_bf16_f32 v112, v112, v113                         // 000000006174: D2680070 0002E370
	v_cvt_pk_bf16_f32 v113, v114, v115                         // 00000000617C: D2680071 0002E772
	v_cvt_pk_bf16_f32 v114, v116, v117                         // 000000006184: D2680072 0002EB74
	v_cvt_pk_bf16_f32 v115, v118, v119                         // 00000000618C: D2680073 0002EF76
	v_cvt_pk_bf16_f32 v116, v120, v121                         // 000000006194: D2680074 0002F378
	v_cvt_pk_bf16_f32 v117, v122, v123                         // 00000000619C: D2680075 0002F77A
	v_cvt_pk_bf16_f32 v118, v124, v125                         // 0000000061A4: D2680076 0002FB7C
	v_cvt_pk_bf16_f32 v119, v126, v127                         // 0000000061AC: D2680077 0002FF7E
	s_cmp_ge_u32 s80, 0x200                                    // 0000000061B4: BF09FF50 00000200
	s_cselect_b32 s59, 0x200, s59                              // 0000000061BC: 853B3BFF 00000200
	s_waitcnt lgkmcnt(0)                                       // 0000000061C4: BF8CC07F
	s_barrier                                                  // 0000000061C8: BF8A0000
	s_setvskip s20, 0                                          // 0000000061CC: BF108014
	global_atomic_pk_add_bf16 v80, v64, s[8:9]                 // 0000000061D0: DD488000 00084050
	s_setvskip 0, 0                                            // 0000000061D8: BF108080
	s_setvskip s20, 0                                          // 0000000061DC: BF108014
	global_atomic_pk_add_bf16 v80, v65, s[8:9] offset:256      // 0000000061E0: DD488100 00084150
	s_setvskip 0, 0                                            // 0000000061E8: BF108080
	s_setvskip s20, 1                                          // 0000000061EC: BF108114
	global_atomic_pk_add_bf16 v82, v66, s[8:9]                 // 0000000061F0: DD488000 00084252
	s_setvskip 0, 0                                            // 0000000061F8: BF108080
	s_setvskip s20, 1                                          // 0000000061FC: BF108114
	global_atomic_pk_add_bf16 v82, v67, s[8:9] offset:256      // 000000006200: DD488100 00084352
	s_setvskip 0, 0                                            // 000000006208: BF108080
	s_setvskip s20, 2                                          // 00000000620C: BF108214
	global_atomic_pk_add_bf16 v84, v68, s[8:9]                 // 000000006210: DD488000 00084454
	s_setvskip 0, 0                                            // 000000006218: BF108080
	s_setvskip s20, 2                                          // 00000000621C: BF108214
	global_atomic_pk_add_bf16 v84, v69, s[8:9] offset:256      // 000000006220: DD488100 00084554
	s_setvskip 0, 0                                            // 000000006228: BF108080
	s_setvskip s20, 3                                          // 00000000622C: BF108314
	global_atomic_pk_add_bf16 v86, v70, s[8:9]                 // 000000006230: DD488000 00084656
	s_setvskip 0, 0                                            // 000000006238: BF108080
	s_setvskip s20, 3                                          // 00000000623C: BF108314
	global_atomic_pk_add_bf16 v86, v71, s[8:9] offset:256      // 000000006240: DD488100 00084756
	s_setvskip 0, 0                                            // 000000006248: BF108080
	s_add_u32 s8, s59, s8                                      // 00000000624C: 8008083B
	s_addc_u32 s9, 0, s9                                       // 000000006250: 82090980
	s_addk_i32 s80, 0x100                                      // 000000006254: B7500100
	s_cmp_lt_i32 s80, s81                                      // 000000006258: BF045150
	s_cbranch_scc0 label_095C                                  // 00000000625C: BF84FC44
	s_waitcnt vmcnt(13) lgkmcnt(0)                             // 000000006260: BF8C007D
	s_barrier                                                  // 000000006264: BF8A0000
	v_mfma_f32_16x16x128_f8f6f4 v[128:131], a[32:39], v[96:103], 0// 000000006268: D3AD0080 0A02C120
	buffer_load_dword v21, v6, s[16:19], 0 offen               // 000000006270: E0501000 80041506
	buffer_load_dwordx4 a[0:3], v38, s[12:15], 0 offen         // 000000006278: E05C1000 80830026
	buffer_load_dwordx4 a[4:7], v38, s[12:15], 0 offen offset:1024// 000000006280: E05C1400 80830426
	buffer_load_dwordx4 a[8:11], v39, s[12:15], 0 offen        // 000000006288: E05C1000 80830827
	buffer_load_dwordx4 a[12:15], v39, s[12:15], 0 offen offset:1024// 000000006290: E05C1400 80830C27
	v_mfma_f32_16x16x128_f8f6f4 v[132:135], a[40:47], v[96:103], 0// 000000006298: D3AD0084 0A02C128
	ds_read_b32 v64, v5 offset:34560                           // 0000000062A0: D86C8700 40000005
	ds_read_b32 v65, v5 offset:38912                           // 0000000062A8: D86C9800 41000005
	ds_read_b32 v66, v5 offset:34568                           // 0000000062B0: D86C8708 42000005
	ds_read_b32 v67, v5 offset:38920                           // 0000000062B8: D86C9808 43000005
	ds_read_b32 v68, v5 offset:34592                           // 0000000062C0: D86C8720 44000005
	ds_read_b32 v69, v5 offset:38944                           // 0000000062C8: D86C9820 45000005
	ds_read_b32 v70, v5 offset:34600                           // 0000000062D0: D86C8728 46000005
	ds_read_b32 v71, v5 offset:38952                           // 0000000062D8: D86C9828 47000005
	s_waitcnt vmcnt(13)                                        // 0000000062E0: BF8C0F7D
	v_mfma_f32_16x16x128_f8f6f4 v[136:139], a[48:55], v[96:103], 0// 0000000062E4: D3AD0088 0A02C130
	buffer_load_dwordx4 a[16:19], v40, s[12:15], 0 offen       // 0000000062EC: E05C1000 80831028
	buffer_load_dwordx4 a[20:23], v40, s[12:15], 0 offen offset:1024// 0000000062F4: E05C1400 80831428
	buffer_load_dwordx4 a[24:27], v41, s[12:15], 0 offen       // 0000000062FC: E05C1000 80831829
	buffer_load_dwordx4 a[28:31], v41, s[12:15], 0 offen offset:1024// 000000006304: E05C1400 80831C29
	v_mfma_f32_16x16x128_f8f6f4 v[140:143], a[56:63], v[96:103], 0// 00000000630C: D3AD008C 0A02C138
	ds_write_b64 v4, v[112:113] offset:17152                   // 000000006314: D89A4300 00007004
	ds_write_b64 v4, v[114:115] offset:19328                   // 00000000631C: D89A4B80 00007204
	ds_write_b64 v4, v[116:117] offset:21504                   // 000000006324: D89A5400 00007404
	ds_write_b64 v4, v[118:119] offset:23680                   // 00000000632C: D89A5C80 00007604
	v_mul_f32_dpp v46, v22, v32 row_newbcast:0 row_mask:0xf bank_mask:0xf// 000000006334: 0A5C40FA FF015016
	v_mov_b32_e32 v47, v46                                     // 00000000633C: 7E5E032E
	v_pk_mul_f32 v[128:129], v[46:47], v[128:129]              // 000000006340: D3B14080 1803012E
	v_pk_mul_f32 v[130:131], v[46:47], v[130:131]              // 000000006348: D3B14082 1803052E
	v_pk_mul_f32 v[132:133], v[46:47], v[132:133]              // 000000006350: D3B14084 1803092E
	v_pk_mul_f32 v[134:135], v[46:47], v[134:135]              // 000000006358: D3B14086 18030D2E
	v_mul_f32_dpp v46, v22, v32 row_newbcast:1 row_mask:0xf bank_mask:0xf// 000000006360: 0A5C40FA FF015116
	v_mov_b32_e32 v47, v46                                     // 000000006368: 7E5E032E
	v_pk_mul_f32 v[136:137], v[46:47], v[136:137]              // 00000000636C: D3B14088 1803112E
	v_pk_mul_f32 v[138:139], v[46:47], v[138:139]              // 000000006374: D3B1408A 1803152E
	v_pk_mul_f32 v[140:141], v[46:47], v[140:141]              // 00000000637C: D3B1408C 1803192E
	v_pk_mul_f32 v[142:143], v[46:47], v[142:143]              // 000000006384: D3B1408E 18031D2E
	s_add_u32 s60, 0x300, s80                                  // 00000000638C: 803C50FF 00000300
	s_cmp_lt_u32 s60, s81                                      // 000000006394: BF0A513C
	s_cselect_b32 s56, s56, 0                                  // 000000006398: 85388038
	s_cselect_b32 s78, s78, 0                                  // 00000000639C: 854E804E
	s_cselect_b32 s79, s79, 0                                  // 0000000063A0: 854F804F
	s_add_u32 s12, s56, s12                                    // 0000000063A4: 800C0C38
	s_addc_u32 s13, 0, s13                                     // 0000000063A8: 820D0D80
	s_add_u32 s16, s79, s16                                    // 0000000063AC: 8010104F
	s_addc_u32 s17, 0, s17                                     // 0000000063B0: 82111180
	v_mov_b32_e32 v46, v27                                     // 0000000063B4: 7E5C031B
	v_mov_b32_e32 v47, v27                                     // 0000000063B8: 7E5E031B
	v_pk_mul_f32 v[128:129], v[46:47], v[128:129]              // 0000000063BC: D3B14080 1803012E
	v_pk_mul_f32 v[130:131], v[46:47], v[130:131]              // 0000000063C4: D3B14082 1803052E
	v_pk_mul_f32 v[132:133], v[46:47], v[132:133]              // 0000000063CC: D3B14084 1803092E
	v_pk_mul_f32 v[134:135], v[46:47], v[134:135]              // 0000000063D4: D3B14086 18030D2E
	v_pk_mul_f32 v[136:137], v[46:47], v[136:137]              // 0000000063DC: D3B14088 1803112E
	v_pk_mul_f32 v[138:139], v[46:47], v[138:139]              // 0000000063E4: D3B1408A 1803152E
	v_pk_mul_f32 v[140:141], v[46:47], v[140:141]              // 0000000063EC: D3B1408C 1803192E
	v_pk_mul_f32 v[142:143], v[46:47], v[142:143]              // 0000000063F4: D3B1408E 18031D2E
	v_cvt_pk_bf16_f32 v128, v128, v129                         // 0000000063FC: D2680080 00030380
	v_cvt_pk_bf16_f32 v129, v130, v131                         // 000000006404: D2680081 00030782
	v_cvt_pk_bf16_f32 v130, v132, v133                         // 00000000640C: D2680082 00030B84
	v_cvt_pk_bf16_f32 v131, v134, v135                         // 000000006414: D2680083 00030F86
	v_cvt_pk_bf16_f32 v132, v136, v137                         // 00000000641C: D2680084 00031388
	v_cvt_pk_bf16_f32 v133, v138, v139                         // 000000006424: D2680085 0003178A
	v_cvt_pk_bf16_f32 v134, v140, v141                         // 00000000642C: D2680086 00031B8C
	v_cvt_pk_bf16_f32 v135, v142, v143                         // 000000006434: D2680087 00031F8E
	s_cmp_ge_u32 s80, 0x200                                    // 00000000643C: BF09FF50 00000200
	s_cselect_b32 s59, 0x200, s59                              // 000000006444: 853B3BFF 00000200
	s_waitcnt lgkmcnt(0)                                       // 00000000644C: BF8CC07F
	s_barrier                                                  // 000000006450: BF8A0000
	s_setvskip s20, 0                                          // 000000006454: BF108014
	global_atomic_pk_add_bf16 v80, v64, s[8:9]                 // 000000006458: DD488000 00084050
	s_setvskip 0, 0                                            // 000000006460: BF108080
	s_setvskip s20, 0                                          // 000000006464: BF108014
	global_atomic_pk_add_bf16 v80, v65, s[8:9] offset:256      // 000000006468: DD488100 00084150
	s_setvskip 0, 0                                            // 000000006470: BF108080
	s_setvskip s20, 1                                          // 000000006474: BF108114
	global_atomic_pk_add_bf16 v82, v66, s[8:9]                 // 000000006478: DD488000 00084252
	s_setvskip 0, 0                                            // 000000006480: BF108080
	s_setvskip s20, 1                                          // 000000006484: BF108114
	global_atomic_pk_add_bf16 v82, v67, s[8:9] offset:256      // 000000006488: DD488100 00084352
	s_setvskip 0, 0                                            // 000000006490: BF108080
	s_setvskip s20, 2                                          // 000000006494: BF108214
	global_atomic_pk_add_bf16 v84, v68, s[8:9]                 // 000000006498: DD488000 00084454
	s_setvskip 0, 0                                            // 0000000064A0: BF108080
	s_setvskip s20, 2                                          // 0000000064A4: BF108214
	global_atomic_pk_add_bf16 v84, v69, s[8:9] offset:256      // 0000000064A8: DD488100 00084554
	s_setvskip 0, 0                                            // 0000000064B0: BF108080
	s_setvskip s20, 3                                          // 0000000064B4: BF108314
	global_atomic_pk_add_bf16 v86, v70, s[8:9]                 // 0000000064B8: DD488000 00084656
	s_setvskip 0, 0                                            // 0000000064C0: BF108080
	s_setvskip s20, 3                                          // 0000000064C4: BF108314
	global_atomic_pk_add_bf16 v86, v71, s[8:9] offset:256      // 0000000064C8: DD488100 00084756
	s_setvskip 0, 0                                            // 0000000064D0: BF108080
	s_add_u32 s8, s59, s8                                      // 0000000064D4: 8008083B
	s_addc_u32 s9, 0, s9                                       // 0000000064D8: 82090980
	s_addk_i32 s80, 0x100                                      // 0000000064DC: B7500100
	s_cmp_lt_i32 s80, s81                                      // 0000000064E0: BF045150
	s_cbranch_scc0 label_095C                                  // 0000000064E4: BF84FBA2
	s_waitcnt vmcnt(13) lgkmcnt(0)                             // 0000000064E8: BF8C007D
	s_barrier                                                  // 0000000064EC: BF8A0000
	v_mfma_f32_16x16x128_f8f6f4 v[112:115], a[64:71], v[96:103], 0// 0000000064F0: D3AD0070 0A02C140
	buffer_load_dword v22, v6, s[16:19], 0 offen               // 0000000064F8: E0501000 80041606
	buffer_load_dwordx4 a[32:35], v38, s[12:15], 0 offen       // 000000006500: E05C1000 80832026
	buffer_load_dwordx4 a[36:39], v38, s[12:15], 0 offen offset:1024// 000000006508: E05C1400 80832426
	buffer_load_dwordx4 a[40:43], v39, s[12:15], 0 offen       // 000000006510: E05C1000 80832827
	buffer_load_dwordx4 a[44:47], v39, s[12:15], 0 offen offset:1024// 000000006518: E05C1400 80832C27
	v_mfma_f32_16x16x128_f8f6f4 v[116:119], a[72:79], v[96:103], 0// 000000006520: D3AD0074 0A02C148
	ds_read_b32 v64, v5 offset:17152                           // 000000006528: D86C4300 40000005
	ds_read_b32 v65, v5 offset:21504                           // 000000006530: D86C5400 41000005
	ds_read_b32 v66, v5 offset:17160                           // 000000006538: D86C4308 42000005
	ds_read_b32 v67, v5 offset:21512                           // 000000006540: D86C5408 43000005
	ds_read_b32 v68, v5 offset:17184                           // 000000006548: D86C4320 44000005
	ds_read_b32 v69, v5 offset:21536                           // 000000006550: D86C5420 45000005
	ds_read_b32 v70, v5 offset:17192                           // 000000006558: D86C4328 46000005
	ds_read_b32 v71, v5 offset:21544                           // 000000006560: D86C5428 47000005
	s_waitcnt vmcnt(13)                                        // 000000006568: BF8C0F7D
	v_mfma_f32_16x16x128_f8f6f4 v[120:123], a[80:87], v[96:103], 0// 00000000656C: D3AD0078 0A02C150
	buffer_load_dwordx4 a[48:51], v40, s[12:15], 0 offen       // 000000006574: E05C1000 80833028
	buffer_load_dwordx4 a[52:55], v40, s[12:15], 0 offen offset:1024// 00000000657C: E05C1400 80833428
	buffer_load_dwordx4 a[56:59], v41, s[12:15], 0 offen       // 000000006584: E05C1000 80833829
	buffer_load_dwordx4 a[60:63], v41, s[12:15], 0 offen offset:1024// 00000000658C: E05C1400 80833C29
	v_mfma_f32_16x16x128_f8f6f4 v[124:127], a[88:95], v[96:103], 0// 000000006594: D3AD007C 0A02C158
	ds_write_b64 v4, v[128:129] offset:34560                   // 00000000659C: D89A8700 00008004
	ds_write_b64 v4, v[130:131] offset:36736                   // 0000000065A4: D89A8F80 00008204
	ds_write_b64 v4, v[132:133] offset:38912                   // 0000000065AC: D89A9800 00008404
	ds_write_b64 v4, v[134:135] offset:41088                   // 0000000065B4: D89AA080 00008604
	v_mul_f32_dpp v46, v23, v32 row_newbcast:0 row_mask:0xf bank_mask:0xf// 0000000065BC: 0A5C40FA FF015017
	v_mov_b32_e32 v47, v46                                     // 0000000065C4: 7E5E032E
	v_pk_mul_f32 v[112:113], v[46:47], v[112:113]              // 0000000065C8: D3B14070 1802E12E
	v_pk_mul_f32 v[114:115], v[46:47], v[114:115]              // 0000000065D0: D3B14072 1802E52E
	v_pk_mul_f32 v[116:117], v[46:47], v[116:117]              // 0000000065D8: D3B14074 1802E92E
	v_pk_mul_f32 v[118:119], v[46:47], v[118:119]              // 0000000065E0: D3B14076 1802ED2E
	v_mul_f32_dpp v46, v23, v32 row_newbcast:1 row_mask:0xf bank_mask:0xf// 0000000065E8: 0A5C40FA FF015117
	v_mov_b32_e32 v47, v46                                     // 0000000065F0: 7E5E032E
	v_pk_mul_f32 v[120:121], v[46:47], v[120:121]              // 0000000065F4: D3B14078 1802F12E
	v_pk_mul_f32 v[122:123], v[46:47], v[122:123]              // 0000000065FC: D3B1407A 1802F52E
	v_pk_mul_f32 v[124:125], v[46:47], v[124:125]              // 000000006604: D3B1407C 1802F92E
	v_pk_mul_f32 v[126:127], v[46:47], v[126:127]              // 00000000660C: D3B1407E 1802FD2E
	s_add_u32 s60, 0x300, s80                                  // 000000006614: 803C50FF 00000300
	s_cmp_lt_u32 s60, s81                                      // 00000000661C: BF0A513C
	s_cselect_b32 s56, s56, 0                                  // 000000006620: 85388038
	s_cselect_b32 s78, s78, 0                                  // 000000006624: 854E804E
	s_cselect_b32 s79, s79, 0                                  // 000000006628: 854F804F
	s_add_u32 s12, s56, s12                                    // 00000000662C: 800C0C38
	s_addc_u32 s13, 0, s13                                     // 000000006630: 820D0D80
	s_add_u32 s16, s79, s16                                    // 000000006634: 8010104F
	s_addc_u32 s17, 0, s17                                     // 000000006638: 82111180
	v_mov_b32_e32 v46, v27                                     // 00000000663C: 7E5C031B
	v_mov_b32_e32 v47, v27                                     // 000000006640: 7E5E031B
	v_pk_mul_f32 v[112:113], v[46:47], v[112:113]              // 000000006644: D3B14070 1802E12E
	v_pk_mul_f32 v[114:115], v[46:47], v[114:115]              // 00000000664C: D3B14072 1802E52E
	v_pk_mul_f32 v[116:117], v[46:47], v[116:117]              // 000000006654: D3B14074 1802E92E
	v_pk_mul_f32 v[118:119], v[46:47], v[118:119]              // 00000000665C: D3B14076 1802ED2E
	v_pk_mul_f32 v[120:121], v[46:47], v[120:121]              // 000000006664: D3B14078 1802F12E
	v_pk_mul_f32 v[122:123], v[46:47], v[122:123]              // 00000000666C: D3B1407A 1802F52E
	v_pk_mul_f32 v[124:125], v[46:47], v[124:125]              // 000000006674: D3B1407C 1802F92E
	v_pk_mul_f32 v[126:127], v[46:47], v[126:127]              // 00000000667C: D3B1407E 1802FD2E
	v_cvt_pk_bf16_f32 v112, v112, v113                         // 000000006684: D2680070 0002E370
	v_cvt_pk_bf16_f32 v113, v114, v115                         // 00000000668C: D2680071 0002E772
	v_cvt_pk_bf16_f32 v114, v116, v117                         // 000000006694: D2680072 0002EB74
	v_cvt_pk_bf16_f32 v115, v118, v119                         // 00000000669C: D2680073 0002EF76
	v_cvt_pk_bf16_f32 v116, v120, v121                         // 0000000066A4: D2680074 0002F378
	v_cvt_pk_bf16_f32 v117, v122, v123                         // 0000000066AC: D2680075 0002F77A
	v_cvt_pk_bf16_f32 v118, v124, v125                         // 0000000066B4: D2680076 0002FB7C
	v_cvt_pk_bf16_f32 v119, v126, v127                         // 0000000066BC: D2680077 0002FF7E
	s_cmp_ge_u32 s80, 0x200                                    // 0000000066C4: BF09FF50 00000200
	s_cselect_b32 s59, 0x200, s59                              // 0000000066CC: 853B3BFF 00000200
	s_waitcnt lgkmcnt(0)                                       // 0000000066D4: BF8CC07F
	s_barrier                                                  // 0000000066D8: BF8A0000
	s_setvskip s20, 0                                          // 0000000066DC: BF108014
	global_atomic_pk_add_bf16 v80, v64, s[8:9]                 // 0000000066E0: DD488000 00084050
	s_setvskip 0, 0                                            // 0000000066E8: BF108080
	s_setvskip s20, 0                                          // 0000000066EC: BF108014
	global_atomic_pk_add_bf16 v80, v65, s[8:9] offset:256      // 0000000066F0: DD488100 00084150
	s_setvskip 0, 0                                            // 0000000066F8: BF108080
	s_setvskip s20, 1                                          // 0000000066FC: BF108114
	global_atomic_pk_add_bf16 v82, v66, s[8:9]                 // 000000006700: DD488000 00084252
	s_setvskip 0, 0                                            // 000000006708: BF108080
	s_setvskip s20, 1                                          // 00000000670C: BF108114
	global_atomic_pk_add_bf16 v82, v67, s[8:9] offset:256      // 000000006710: DD488100 00084352
	s_setvskip 0, 0                                            // 000000006718: BF108080
	s_setvskip s20, 2                                          // 00000000671C: BF108214
	global_atomic_pk_add_bf16 v84, v68, s[8:9]                 // 000000006720: DD488000 00084454
	s_setvskip 0, 0                                            // 000000006728: BF108080
	s_setvskip s20, 2                                          // 00000000672C: BF108214
	global_atomic_pk_add_bf16 v84, v69, s[8:9] offset:256      // 000000006730: DD488100 00084554
	s_setvskip 0, 0                                            // 000000006738: BF108080
	s_setvskip s20, 3                                          // 00000000673C: BF108314
	global_atomic_pk_add_bf16 v86, v70, s[8:9]                 // 000000006740: DD488000 00084656
	s_setvskip 0, 0                                            // 000000006748: BF108080
	s_setvskip s20, 3                                          // 00000000674C: BF108314
	global_atomic_pk_add_bf16 v86, v71, s[8:9] offset:256      // 000000006750: DD488100 00084756
	s_setvskip 0, 0                                            // 000000006758: BF108080
	s_add_u32 s8, s59, s8                                      // 00000000675C: 8008083B
	s_addc_u32 s9, 0, s9                                       // 000000006760: 82090980
	s_addk_i32 s80, 0x100                                      // 000000006764: B7500100
	s_cmp_lt_i32 s80, s81                                      // 000000006768: BF045150
	s_cbranch_scc0 label_095C                                  // 00000000676C: BF84FB00
	s_waitcnt vmcnt(13) lgkmcnt(0)                             // 000000006770: BF8C007D
	s_barrier                                                  // 000000006774: BF8A0000
	v_mfma_f32_16x16x128_f8f6f4 v[128:131], a[0:7], v[96:103], 0// 000000006778: D3AD0080 0A02C100
	buffer_load_dword v23, v6, s[16:19], 0 offen               // 000000006780: E0501000 80041706
	buffer_load_dwordx4 a[64:67], v38, s[12:15], 0 offen       // 000000006788: E05C1000 80834026
	buffer_load_dwordx4 a[68:71], v38, s[12:15], 0 offen offset:1024// 000000006790: E05C1400 80834426
	buffer_load_dwordx4 a[72:75], v39, s[12:15], 0 offen       // 000000006798: E05C1000 80834827
	buffer_load_dwordx4 a[76:79], v39, s[12:15], 0 offen offset:1024// 0000000067A0: E05C1400 80834C27
	v_mfma_f32_16x16x128_f8f6f4 v[132:135], a[8:15], v[96:103], 0// 0000000067A8: D3AD0084 0A02C108
	ds_read_b32 v64, v5 offset:34560                           // 0000000067B0: D86C8700 40000005
	ds_read_b32 v65, v5 offset:38912                           // 0000000067B8: D86C9800 41000005
	ds_read_b32 v66, v5 offset:34568                           // 0000000067C0: D86C8708 42000005
	ds_read_b32 v67, v5 offset:38920                           // 0000000067C8: D86C9808 43000005
	ds_read_b32 v68, v5 offset:34592                           // 0000000067D0: D86C8720 44000005
	ds_read_b32 v69, v5 offset:38944                           // 0000000067D8: D86C9820 45000005
	ds_read_b32 v70, v5 offset:34600                           // 0000000067E0: D86C8728 46000005
	ds_read_b32 v71, v5 offset:38952                           // 0000000067E8: D86C9828 47000005
	s_waitcnt vmcnt(13)                                        // 0000000067F0: BF8C0F7D
	v_mfma_f32_16x16x128_f8f6f4 v[136:139], a[16:23], v[96:103], 0// 0000000067F4: D3AD0088 0A02C110
	buffer_load_dwordx4 a[80:83], v40, s[12:15], 0 offen       // 0000000067FC: E05C1000 80835028
	buffer_load_dwordx4 a[84:87], v40, s[12:15], 0 offen offset:1024// 000000006804: E05C1400 80835428
	buffer_load_dwordx4 a[88:91], v41, s[12:15], 0 offen       // 00000000680C: E05C1000 80835829
	buffer_load_dwordx4 a[92:95], v41, s[12:15], 0 offen offset:1024// 000000006814: E05C1400 80835C29
	v_mfma_f32_16x16x128_f8f6f4 v[140:143], a[24:31], v[96:103], 0// 00000000681C: D3AD008C 0A02C118
	ds_write_b64 v4, v[112:113] offset:17152                   // 000000006824: D89A4300 00007004
	ds_write_b64 v4, v[114:115] offset:19328                   // 00000000682C: D89A4B80 00007204
	ds_write_b64 v4, v[116:117] offset:21504                   // 000000006834: D89A5400 00007404
	ds_write_b64 v4, v[118:119] offset:23680                   // 00000000683C: D89A5C80 00007604
	v_mul_f32_dpp v46, v21, v32 row_newbcast:0 row_mask:0xf bank_mask:0xf// 000000006844: 0A5C40FA FF015015
	v_mov_b32_e32 v47, v46                                     // 00000000684C: 7E5E032E
	v_pk_mul_f32 v[128:129], v[46:47], v[128:129]              // 000000006850: D3B14080 1803012E
	v_pk_mul_f32 v[130:131], v[46:47], v[130:131]              // 000000006858: D3B14082 1803052E
	v_pk_mul_f32 v[132:133], v[46:47], v[132:133]              // 000000006860: D3B14084 1803092E
	v_pk_mul_f32 v[134:135], v[46:47], v[134:135]              // 000000006868: D3B14086 18030D2E
	v_mul_f32_dpp v46, v21, v32 row_newbcast:1 row_mask:0xf bank_mask:0xf// 000000006870: 0A5C40FA FF015115
	v_mov_b32_e32 v47, v46                                     // 000000006878: 7E5E032E
	v_pk_mul_f32 v[136:137], v[46:47], v[136:137]              // 00000000687C: D3B14088 1803112E
	v_pk_mul_f32 v[138:139], v[46:47], v[138:139]              // 000000006884: D3B1408A 1803152E
	v_pk_mul_f32 v[140:141], v[46:47], v[140:141]              // 00000000688C: D3B1408C 1803192E
	v_pk_mul_f32 v[142:143], v[46:47], v[142:143]              // 000000006894: D3B1408E 18031D2E
	s_add_u32 s60, 0x300, s80                                  // 00000000689C: 803C50FF 00000300
	s_cmp_lt_u32 s60, s81                                      // 0000000068A4: BF0A513C
	s_cselect_b32 s56, s56, 0                                  // 0000000068A8: 85388038
	s_cselect_b32 s78, s78, 0                                  // 0000000068AC: 854E804E
	s_cselect_b32 s79, s79, 0                                  // 0000000068B0: 854F804F
	s_add_u32 s12, s56, s12                                    // 0000000068B4: 800C0C38
	s_addc_u32 s13, 0, s13                                     // 0000000068B8: 820D0D80
	s_add_u32 s16, s79, s16                                    // 0000000068BC: 8010104F
	s_addc_u32 s17, 0, s17                                     // 0000000068C0: 82111180
	v_mov_b32_e32 v46, v27                                     // 0000000068C4: 7E5C031B
	v_mov_b32_e32 v47, v27                                     // 0000000068C8: 7E5E031B
	v_pk_mul_f32 v[128:129], v[46:47], v[128:129]              // 0000000068CC: D3B14080 1803012E
	v_pk_mul_f32 v[130:131], v[46:47], v[130:131]              // 0000000068D4: D3B14082 1803052E
	v_pk_mul_f32 v[132:133], v[46:47], v[132:133]              // 0000000068DC: D3B14084 1803092E
	v_pk_mul_f32 v[134:135], v[46:47], v[134:135]              // 0000000068E4: D3B14086 18030D2E
	v_pk_mul_f32 v[136:137], v[46:47], v[136:137]              // 0000000068EC: D3B14088 1803112E
	v_pk_mul_f32 v[138:139], v[46:47], v[138:139]              // 0000000068F4: D3B1408A 1803152E
	v_pk_mul_f32 v[140:141], v[46:47], v[140:141]              // 0000000068FC: D3B1408C 1803192E
	v_pk_mul_f32 v[142:143], v[46:47], v[142:143]              // 000000006904: D3B1408E 18031D2E
	v_cvt_pk_bf16_f32 v128, v128, v129                         // 00000000690C: D2680080 00030380
	v_cvt_pk_bf16_f32 v129, v130, v131                         // 000000006914: D2680081 00030782
	v_cvt_pk_bf16_f32 v130, v132, v133                         // 00000000691C: D2680082 00030B84
	v_cvt_pk_bf16_f32 v131, v134, v135                         // 000000006924: D2680083 00030F86
	v_cvt_pk_bf16_f32 v132, v136, v137                         // 00000000692C: D2680084 00031388
	v_cvt_pk_bf16_f32 v133, v138, v139                         // 000000006934: D2680085 0003178A
	v_cvt_pk_bf16_f32 v134, v140, v141                         // 00000000693C: D2680086 00031B8C
	v_cvt_pk_bf16_f32 v135, v142, v143                         // 000000006944: D2680087 00031F8E
	s_cmp_ge_u32 s80, 0x200                                    // 00000000694C: BF09FF50 00000200
	s_cselect_b32 s59, 0x200, s59                              // 000000006954: 853B3BFF 00000200
	s_waitcnt lgkmcnt(0)                                       // 00000000695C: BF8CC07F
	s_barrier                                                  // 000000006960: BF8A0000
	s_setvskip s20, 0                                          // 000000006964: BF108014
	global_atomic_pk_add_bf16 v80, v64, s[8:9]                 // 000000006968: DD488000 00084050
	s_setvskip 0, 0                                            // 000000006970: BF108080
	s_setvskip s20, 0                                          // 000000006974: BF108014
	global_atomic_pk_add_bf16 v80, v65, s[8:9] offset:256      // 000000006978: DD488100 00084150
	s_setvskip 0, 0                                            // 000000006980: BF108080
	s_setvskip s20, 1                                          // 000000006984: BF108114
	global_atomic_pk_add_bf16 v82, v66, s[8:9]                 // 000000006988: DD488000 00084252
	s_setvskip 0, 0                                            // 000000006990: BF108080
	s_setvskip s20, 1                                          // 000000006994: BF108114
	global_atomic_pk_add_bf16 v82, v67, s[8:9] offset:256      // 000000006998: DD488100 00084352
	s_setvskip 0, 0                                            // 0000000069A0: BF108080
	s_setvskip s20, 2                                          // 0000000069A4: BF108214
	global_atomic_pk_add_bf16 v84, v68, s[8:9]                 // 0000000069A8: DD488000 00084454
	s_setvskip 0, 0                                            // 0000000069B0: BF108080
	s_setvskip s20, 2                                          // 0000000069B4: BF108214
	global_atomic_pk_add_bf16 v84, v69, s[8:9] offset:256      // 0000000069B8: DD488100 00084554
	s_setvskip 0, 0                                            // 0000000069C0: BF108080
	s_setvskip s20, 3                                          // 0000000069C4: BF108314
	global_atomic_pk_add_bf16 v86, v70, s[8:9]                 // 0000000069C8: DD488000 00084656
	s_setvskip 0, 0                                            // 0000000069D0: BF108080
	s_setvskip s20, 3                                          // 0000000069D4: BF108314
	global_atomic_pk_add_bf16 v86, v71, s[8:9] offset:256      // 0000000069D8: DD488100 00084756
	s_setvskip 0, 0                                            // 0000000069E0: BF108080
	s_add_u32 s8, s59, s8                                      // 0000000069E4: 8008083B
	s_addc_u32 s9, 0, s9                                       // 0000000069E8: 82090980
	s_addk_i32 s80, 0x100                                      // 0000000069EC: B7500100
	s_cmp_lt_i32 s80, s81                                      // 0000000069F0: BF045150
	s_cbranch_scc0 label_095C                                  // 0000000069F4: BF84FA5E
	s_waitcnt vmcnt(13) lgkmcnt(0)                             // 0000000069F8: BF8C007D
	s_barrier                                                  // 0000000069FC: BF8A0000
	v_mfma_f32_16x16x128_f8f6f4 v[112:115], a[32:39], v[96:103], 0// 000000006A00: D3AD0070 0A02C120
	buffer_load_dword v21, v6, s[16:19], 0 offen               // 000000006A08: E0501000 80041506
	buffer_load_dwordx4 a[0:3], v38, s[12:15], 0 offen         // 000000006A10: E05C1000 80830026
	buffer_load_dwordx4 a[4:7], v38, s[12:15], 0 offen offset:1024// 000000006A18: E05C1400 80830426
	buffer_load_dwordx4 a[8:11], v39, s[12:15], 0 offen        // 000000006A20: E05C1000 80830827
	buffer_load_dwordx4 a[12:15], v39, s[12:15], 0 offen offset:1024// 000000006A28: E05C1400 80830C27
	v_mfma_f32_16x16x128_f8f6f4 v[116:119], a[40:47], v[96:103], 0// 000000006A30: D3AD0074 0A02C128
	ds_read_b32 v64, v5 offset:17152                           // 000000006A38: D86C4300 40000005
	ds_read_b32 v65, v5 offset:21504                           // 000000006A40: D86C5400 41000005
	ds_read_b32 v66, v5 offset:17160                           // 000000006A48: D86C4308 42000005
	ds_read_b32 v67, v5 offset:21512                           // 000000006A50: D86C5408 43000005
	ds_read_b32 v68, v5 offset:17184                           // 000000006A58: D86C4320 44000005
	ds_read_b32 v69, v5 offset:21536                           // 000000006A60: D86C5420 45000005
	ds_read_b32 v70, v5 offset:17192                           // 000000006A68: D86C4328 46000005
	ds_read_b32 v71, v5 offset:21544                           // 000000006A70: D86C5428 47000005
	s_waitcnt vmcnt(13)                                        // 000000006A78: BF8C0F7D
	v_mfma_f32_16x16x128_f8f6f4 v[120:123], a[48:55], v[96:103], 0// 000000006A7C: D3AD0078 0A02C130
	buffer_load_dwordx4 a[16:19], v40, s[12:15], 0 offen       // 000000006A84: E05C1000 80831028
	buffer_load_dwordx4 a[20:23], v40, s[12:15], 0 offen offset:1024// 000000006A8C: E05C1400 80831428
	buffer_load_dwordx4 a[24:27], v41, s[12:15], 0 offen       // 000000006A94: E05C1000 80831829
	buffer_load_dwordx4 a[28:31], v41, s[12:15], 0 offen offset:1024// 000000006A9C: E05C1400 80831C29
	v_mfma_f32_16x16x128_f8f6f4 v[124:127], a[56:63], v[96:103], 0// 000000006AA4: D3AD007C 0A02C138
	ds_write_b64 v4, v[128:129] offset:34560                   // 000000006AAC: D89A8700 00008004
	ds_write_b64 v4, v[130:131] offset:36736                   // 000000006AB4: D89A8F80 00008204
	ds_write_b64 v4, v[132:133] offset:38912                   // 000000006ABC: D89A9800 00008404
	ds_write_b64 v4, v[134:135] offset:41088                   // 000000006AC4: D89AA080 00008604
	v_mul_f32_dpp v46, v22, v32 row_newbcast:0 row_mask:0xf bank_mask:0xf// 000000006ACC: 0A5C40FA FF015016
	v_mov_b32_e32 v47, v46                                     // 000000006AD4: 7E5E032E
	v_pk_mul_f32 v[112:113], v[46:47], v[112:113]              // 000000006AD8: D3B14070 1802E12E
	v_pk_mul_f32 v[114:115], v[46:47], v[114:115]              // 000000006AE0: D3B14072 1802E52E
	v_pk_mul_f32 v[116:117], v[46:47], v[116:117]              // 000000006AE8: D3B14074 1802E92E
	v_pk_mul_f32 v[118:119], v[46:47], v[118:119]              // 000000006AF0: D3B14076 1802ED2E
	v_mul_f32_dpp v46, v22, v32 row_newbcast:1 row_mask:0xf bank_mask:0xf// 000000006AF8: 0A5C40FA FF015116
	v_mov_b32_e32 v47, v46                                     // 000000006B00: 7E5E032E
	v_pk_mul_f32 v[120:121], v[46:47], v[120:121]              // 000000006B04: D3B14078 1802F12E
	v_pk_mul_f32 v[122:123], v[46:47], v[122:123]              // 000000006B0C: D3B1407A 1802F52E
	v_pk_mul_f32 v[124:125], v[46:47], v[124:125]              // 000000006B14: D3B1407C 1802F92E
	v_pk_mul_f32 v[126:127], v[46:47], v[126:127]              // 000000006B1C: D3B1407E 1802FD2E
	s_add_u32 s60, 0x300, s80                                  // 000000006B24: 803C50FF 00000300
	s_cmp_lt_u32 s60, s81                                      // 000000006B2C: BF0A513C
	s_cselect_b32 s56, s56, 0                                  // 000000006B30: 85388038
	s_cselect_b32 s78, s78, 0                                  // 000000006B34: 854E804E
	s_cselect_b32 s79, s79, 0                                  // 000000006B38: 854F804F
	s_add_u32 s12, s56, s12                                    // 000000006B3C: 800C0C38
	s_addc_u32 s13, 0, s13                                     // 000000006B40: 820D0D80
	s_add_u32 s16, s79, s16                                    // 000000006B44: 8010104F
	s_addc_u32 s17, 0, s17                                     // 000000006B48: 82111180
	v_mov_b32_e32 v46, v27                                     // 000000006B4C: 7E5C031B
	v_mov_b32_e32 v47, v27                                     // 000000006B50: 7E5E031B
	v_pk_mul_f32 v[112:113], v[46:47], v[112:113]              // 000000006B54: D3B14070 1802E12E
	v_pk_mul_f32 v[114:115], v[46:47], v[114:115]              // 000000006B5C: D3B14072 1802E52E
	v_pk_mul_f32 v[116:117], v[46:47], v[116:117]              // 000000006B64: D3B14074 1802E92E
	v_pk_mul_f32 v[118:119], v[46:47], v[118:119]              // 000000006B6C: D3B14076 1802ED2E
	v_pk_mul_f32 v[120:121], v[46:47], v[120:121]              // 000000006B74: D3B14078 1802F12E
	v_pk_mul_f32 v[122:123], v[46:47], v[122:123]              // 000000006B7C: D3B1407A 1802F52E
	v_pk_mul_f32 v[124:125], v[46:47], v[124:125]              // 000000006B84: D3B1407C 1802F92E
	v_pk_mul_f32 v[126:127], v[46:47], v[126:127]              // 000000006B8C: D3B1407E 1802FD2E
	v_cvt_pk_bf16_f32 v112, v112, v113                         // 000000006B94: D2680070 0002E370
	v_cvt_pk_bf16_f32 v113, v114, v115                         // 000000006B9C: D2680071 0002E772
	v_cvt_pk_bf16_f32 v114, v116, v117                         // 000000006BA4: D2680072 0002EB74
	v_cvt_pk_bf16_f32 v115, v118, v119                         // 000000006BAC: D2680073 0002EF76
	v_cvt_pk_bf16_f32 v116, v120, v121                         // 000000006BB4: D2680074 0002F378
	v_cvt_pk_bf16_f32 v117, v122, v123                         // 000000006BBC: D2680075 0002F77A
	v_cvt_pk_bf16_f32 v118, v124, v125                         // 000000006BC4: D2680076 0002FB7C
	v_cvt_pk_bf16_f32 v119, v126, v127                         // 000000006BCC: D2680077 0002FF7E
	s_cmp_ge_u32 s80, 0x200                                    // 000000006BD4: BF09FF50 00000200
	s_cselect_b32 s59, 0x200, s59                              // 000000006BDC: 853B3BFF 00000200
	s_waitcnt lgkmcnt(0)                                       // 000000006BE4: BF8CC07F
	s_barrier                                                  // 000000006BE8: BF8A0000
	s_setvskip s20, 0                                          // 000000006BEC: BF108014
	global_atomic_pk_add_bf16 v80, v64, s[8:9]                 // 000000006BF0: DD488000 00084050
	s_setvskip 0, 0                                            // 000000006BF8: BF108080
	s_setvskip s20, 0                                          // 000000006BFC: BF108014
	global_atomic_pk_add_bf16 v80, v65, s[8:9] offset:256      // 000000006C00: DD488100 00084150
	s_setvskip 0, 0                                            // 000000006C08: BF108080
	s_setvskip s20, 1                                          // 000000006C0C: BF108114
	global_atomic_pk_add_bf16 v82, v66, s[8:9]                 // 000000006C10: DD488000 00084252
	s_setvskip 0, 0                                            // 000000006C18: BF108080
	s_setvskip s20, 1                                          // 000000006C1C: BF108114
	global_atomic_pk_add_bf16 v82, v67, s[8:9] offset:256      // 000000006C20: DD488100 00084352
	s_setvskip 0, 0                                            // 000000006C28: BF108080
	s_setvskip s20, 2                                          // 000000006C2C: BF108214
	global_atomic_pk_add_bf16 v84, v68, s[8:9]                 // 000000006C30: DD488000 00084454
	s_setvskip 0, 0                                            // 000000006C38: BF108080
	s_setvskip s20, 2                                          // 000000006C3C: BF108214
	global_atomic_pk_add_bf16 v84, v69, s[8:9] offset:256      // 000000006C40: DD488100 00084554
	s_setvskip 0, 0                                            // 000000006C48: BF108080
	s_setvskip s20, 3                                          // 000000006C4C: BF108314
	global_atomic_pk_add_bf16 v86, v70, s[8:9]                 // 000000006C50: DD488000 00084656
	s_setvskip 0, 0                                            // 000000006C58: BF108080
	s_setvskip s20, 3                                          // 000000006C5C: BF108314
	global_atomic_pk_add_bf16 v86, v71, s[8:9] offset:256      // 000000006C60: DD488100 00084756
	s_setvskip 0, 0                                            // 000000006C68: BF108080
	s_add_u32 s8, s59, s8                                      // 000000006C6C: 8008083B
	s_addc_u32 s9, 0, s9                                       // 000000006C70: 82090980
	s_addk_i32 s80, 0x100                                      // 000000006C74: B7500100
	s_cmp_lt_i32 s80, s81                                      // 000000006C78: BF045150
	s_cbranch_scc0 label_095C                                  // 000000006C7C: BF84F9BC
	s_waitcnt vmcnt(13) lgkmcnt(0)                             // 000000006C80: BF8C007D
	s_barrier                                                  // 000000006C84: BF8A0000
	v_mfma_f32_16x16x128_f8f6f4 v[128:131], a[64:71], v[96:103], 0// 000000006C88: D3AD0080 0A02C140
	buffer_load_dword v22, v6, s[16:19], 0 offen               // 000000006C90: E0501000 80041606
	buffer_load_dwordx4 a[32:35], v38, s[12:15], 0 offen       // 000000006C98: E05C1000 80832026
	buffer_load_dwordx4 a[36:39], v38, s[12:15], 0 offen offset:1024// 000000006CA0: E05C1400 80832426
	buffer_load_dwordx4 a[40:43], v39, s[12:15], 0 offen       // 000000006CA8: E05C1000 80832827
	buffer_load_dwordx4 a[44:47], v39, s[12:15], 0 offen offset:1024// 000000006CB0: E05C1400 80832C27
	v_mfma_f32_16x16x128_f8f6f4 v[132:135], a[72:79], v[96:103], 0// 000000006CB8: D3AD0084 0A02C148
	ds_read_b32 v64, v5 offset:34560                           // 000000006CC0: D86C8700 40000005
	ds_read_b32 v65, v5 offset:38912                           // 000000006CC8: D86C9800 41000005
	ds_read_b32 v66, v5 offset:34568                           // 000000006CD0: D86C8708 42000005
	ds_read_b32 v67, v5 offset:38920                           // 000000006CD8: D86C9808 43000005
	ds_read_b32 v68, v5 offset:34592                           // 000000006CE0: D86C8720 44000005
	ds_read_b32 v69, v5 offset:38944                           // 000000006CE8: D86C9820 45000005
	ds_read_b32 v70, v5 offset:34600                           // 000000006CF0: D86C8728 46000005
	ds_read_b32 v71, v5 offset:38952                           // 000000006CF8: D86C9828 47000005
	s_waitcnt vmcnt(13)                                        // 000000006D00: BF8C0F7D
	v_mfma_f32_16x16x128_f8f6f4 v[136:139], a[80:87], v[96:103], 0// 000000006D04: D3AD0088 0A02C150
	buffer_load_dwordx4 a[48:51], v40, s[12:15], 0 offen       // 000000006D0C: E05C1000 80833028
	buffer_load_dwordx4 a[52:55], v40, s[12:15], 0 offen offset:1024// 000000006D14: E05C1400 80833428
	buffer_load_dwordx4 a[56:59], v41, s[12:15], 0 offen       // 000000006D1C: E05C1000 80833829
	buffer_load_dwordx4 a[60:63], v41, s[12:15], 0 offen offset:1024// 000000006D24: E05C1400 80833C29
	v_mfma_f32_16x16x128_f8f6f4 v[140:143], a[88:95], v[96:103], 0// 000000006D2C: D3AD008C 0A02C158
	ds_write_b64 v4, v[112:113] offset:17152                   // 000000006D34: D89A4300 00007004
	ds_write_b64 v4, v[114:115] offset:19328                   // 000000006D3C: D89A4B80 00007204
	ds_write_b64 v4, v[116:117] offset:21504                   // 000000006D44: D89A5400 00007404
	ds_write_b64 v4, v[118:119] offset:23680                   // 000000006D4C: D89A5C80 00007604
	v_mul_f32_dpp v46, v23, v32 row_newbcast:0 row_mask:0xf bank_mask:0xf// 000000006D54: 0A5C40FA FF015017
	v_mov_b32_e32 v47, v46                                     // 000000006D5C: 7E5E032E
	v_pk_mul_f32 v[128:129], v[46:47], v[128:129]              // 000000006D60: D3B14080 1803012E
	v_pk_mul_f32 v[130:131], v[46:47], v[130:131]              // 000000006D68: D3B14082 1803052E
	v_pk_mul_f32 v[132:133], v[46:47], v[132:133]              // 000000006D70: D3B14084 1803092E
	v_pk_mul_f32 v[134:135], v[46:47], v[134:135]              // 000000006D78: D3B14086 18030D2E
	v_mul_f32_dpp v46, v23, v32 row_newbcast:1 row_mask:0xf bank_mask:0xf// 000000006D80: 0A5C40FA FF015117
	v_mov_b32_e32 v47, v46                                     // 000000006D88: 7E5E032E
	v_pk_mul_f32 v[136:137], v[46:47], v[136:137]              // 000000006D8C: D3B14088 1803112E
	v_pk_mul_f32 v[138:139], v[46:47], v[138:139]              // 000000006D94: D3B1408A 1803152E
	v_pk_mul_f32 v[140:141], v[46:47], v[140:141]              // 000000006D9C: D3B1408C 1803192E
	v_pk_mul_f32 v[142:143], v[46:47], v[142:143]              // 000000006DA4: D3B1408E 18031D2E
	s_add_u32 s60, 0x300, s80                                  // 000000006DAC: 803C50FF 00000300
	s_cmp_lt_u32 s60, s81                                      // 000000006DB4: BF0A513C
	s_cselect_b32 s56, s56, 0                                  // 000000006DB8: 85388038
	s_cselect_b32 s78, s78, 0                                  // 000000006DBC: 854E804E
	s_cselect_b32 s79, s79, 0                                  // 000000006DC0: 854F804F
	s_add_u32 s12, s56, s12                                    // 000000006DC4: 800C0C38
	s_addc_u32 s13, 0, s13                                     // 000000006DC8: 820D0D80
	s_add_u32 s16, s79, s16                                    // 000000006DCC: 8010104F
	s_addc_u32 s17, 0, s17                                     // 000000006DD0: 82111180
	v_mov_b32_e32 v46, v27                                     // 000000006DD4: 7E5C031B
	v_mov_b32_e32 v47, v27                                     // 000000006DD8: 7E5E031B
	v_pk_mul_f32 v[128:129], v[46:47], v[128:129]              // 000000006DDC: D3B14080 1803012E
	v_pk_mul_f32 v[130:131], v[46:47], v[130:131]              // 000000006DE4: D3B14082 1803052E
	v_pk_mul_f32 v[132:133], v[46:47], v[132:133]              // 000000006DEC: D3B14084 1803092E
	v_pk_mul_f32 v[134:135], v[46:47], v[134:135]              // 000000006DF4: D3B14086 18030D2E
	v_pk_mul_f32 v[136:137], v[46:47], v[136:137]              // 000000006DFC: D3B14088 1803112E
	v_pk_mul_f32 v[138:139], v[46:47], v[138:139]              // 000000006E04: D3B1408A 1803152E
	v_pk_mul_f32 v[140:141], v[46:47], v[140:141]              // 000000006E0C: D3B1408C 1803192E
	v_pk_mul_f32 v[142:143], v[46:47], v[142:143]              // 000000006E14: D3B1408E 18031D2E
	v_cvt_pk_bf16_f32 v128, v128, v129                         // 000000006E1C: D2680080 00030380
	v_cvt_pk_bf16_f32 v129, v130, v131                         // 000000006E24: D2680081 00030782
	v_cvt_pk_bf16_f32 v130, v132, v133                         // 000000006E2C: D2680082 00030B84
	v_cvt_pk_bf16_f32 v131, v134, v135                         // 000000006E34: D2680083 00030F86
	v_cvt_pk_bf16_f32 v132, v136, v137                         // 000000006E3C: D2680084 00031388
	v_cvt_pk_bf16_f32 v133, v138, v139                         // 000000006E44: D2680085 0003178A
	v_cvt_pk_bf16_f32 v134, v140, v141                         // 000000006E4C: D2680086 00031B8C
	v_cvt_pk_bf16_f32 v135, v142, v143                         // 000000006E54: D2680087 00031F8E
	s_cmp_ge_u32 s80, 0x200                                    // 000000006E5C: BF09FF50 00000200
	s_cselect_b32 s59, 0x200, s59                              // 000000006E64: 853B3BFF 00000200
	s_waitcnt lgkmcnt(0)                                       // 000000006E6C: BF8CC07F
	s_barrier                                                  // 000000006E70: BF8A0000
	s_setvskip s20, 0                                          // 000000006E74: BF108014
	global_atomic_pk_add_bf16 v80, v64, s[8:9]                 // 000000006E78: DD488000 00084050
	s_setvskip 0, 0                                            // 000000006E80: BF108080
	s_setvskip s20, 0                                          // 000000006E84: BF108014
	global_atomic_pk_add_bf16 v80, v65, s[8:9] offset:256      // 000000006E88: DD488100 00084150
	s_setvskip 0, 0                                            // 000000006E90: BF108080
	s_setvskip s20, 1                                          // 000000006E94: BF108114
	global_atomic_pk_add_bf16 v82, v66, s[8:9]                 // 000000006E98: DD488000 00084252
	s_setvskip 0, 0                                            // 000000006EA0: BF108080
	s_setvskip s20, 1                                          // 000000006EA4: BF108114
	global_atomic_pk_add_bf16 v82, v67, s[8:9] offset:256      // 000000006EA8: DD488100 00084352
	s_setvskip 0, 0                                            // 000000006EB0: BF108080
	s_setvskip s20, 2                                          // 000000006EB4: BF108214
	global_atomic_pk_add_bf16 v84, v68, s[8:9]                 // 000000006EB8: DD488000 00084454
	s_setvskip 0, 0                                            // 000000006EC0: BF108080
	s_setvskip s20, 2                                          // 000000006EC4: BF108214
	global_atomic_pk_add_bf16 v84, v69, s[8:9] offset:256      // 000000006EC8: DD488100 00084554
	s_setvskip 0, 0                                            // 000000006ED0: BF108080
	s_setvskip s20, 3                                          // 000000006ED4: BF108314
	global_atomic_pk_add_bf16 v86, v70, s[8:9]                 // 000000006ED8: DD488000 00084656
	s_setvskip 0, 0                                            // 000000006EE0: BF108080
	s_setvskip s20, 3                                          // 000000006EE4: BF108314
	global_atomic_pk_add_bf16 v86, v71, s[8:9] offset:256      // 000000006EE8: DD488100 00084756
	s_setvskip 0, 0                                            // 000000006EF0: BF108080
	s_add_u32 s8, s59, s8                                      // 000000006EF4: 8008083B
	s_addc_u32 s9, 0, s9                                       // 000000006EF8: 82090980
	s_addk_i32 s80, 0x100                                      // 000000006EFC: B7500100
	s_cmp_lt_i32 s80, s81                                      // 000000006F00: BF045150
	s_cbranch_scc0 label_095C                                  // 000000006F04: BF84F91A
	s_branch label_0C76                                        // 000000006F08: BF82FC33

0000000000006f0c <label_1043>:
	s_cmp_ge_u32 s59, 0                                        // 000000006F0C: BF09803B
	s_cselect_b32 s59, 0x200, s59                              // 000000006F10: 853B3BFF 00000200
	s_waitcnt lgkmcnt(0)                                       // 000000006F18: BF8CC07F
	s_barrier                                                  // 000000006F1C: BF8A0000
	s_cmp_eq_u32 s64, 0x100                                    // 000000006F20: BF06FF40 00000100
	s_cbranch_scc0 label_1087                                  // 000000006F28: BF84003C
	ds_write_b64 v4, v[112:113] offset:17152                   // 000000006F2C: D89A4300 00007004
	ds_write_b64 v4, v[114:115] offset:19328                   // 000000006F34: D89A4B80 00007204
	ds_write_b64 v4, v[116:117] offset:21504                   // 000000006F3C: D89A5400 00007404
	ds_write_b64 v4, v[118:119] offset:23680                   // 000000006F44: D89A5C80 00007604
	s_waitcnt lgkmcnt(0)                                       // 000000006F4C: BF8CC07F
	s_barrier                                                  // 000000006F50: BF8A0000
	ds_read_b32 v64, v5 offset:17152                           // 000000006F54: D86C4300 40000005
	ds_read_b32 v65, v5 offset:21504                           // 000000006F5C: D86C5400 41000005
	ds_read_b32 v66, v5 offset:17160                           // 000000006F64: D86C4308 42000005
	ds_read_b32 v67, v5 offset:21512                           // 000000006F6C: D86C5408 43000005
	ds_read_b32 v68, v5 offset:17184                           // 000000006F74: D86C4320 44000005
	ds_read_b32 v69, v5 offset:21536                           // 000000006F7C: D86C5420 45000005
	ds_read_b32 v70, v5 offset:17192                           // 000000006F84: D86C4328 46000005
	ds_read_b32 v71, v5 offset:21544                           // 000000006F8C: D86C5428 47000005
	s_waitcnt lgkmcnt(0)                                       // 000000006F94: BF8CC07F
	s_setvskip s20, 0                                          // 000000006F98: BF108014
	global_atomic_pk_add_bf16 v80, v64, s[8:9]                 // 000000006F9C: DD488000 00084050
	s_setvskip 0, 0                                            // 000000006FA4: BF108080
	s_setvskip s20, 0                                          // 000000006FA8: BF108014
	global_atomic_pk_add_bf16 v80, v65, s[8:9] offset:256      // 000000006FAC: DD488100 00084150
	s_setvskip 0, 0                                            // 000000006FB4: BF108080
	s_setvskip s20, 1                                          // 000000006FB8: BF108114
	global_atomic_pk_add_bf16 v82, v66, s[8:9]                 // 000000006FBC: DD488000 00084252
	s_setvskip 0, 0                                            // 000000006FC4: BF108080
	s_setvskip s20, 1                                          // 000000006FC8: BF108114
	global_atomic_pk_add_bf16 v82, v67, s[8:9] offset:256      // 000000006FCC: DD488100 00084352
	s_setvskip 0, 0                                            // 000000006FD4: BF108080
	s_setvskip s20, 2                                          // 000000006FD8: BF108214
	global_atomic_pk_add_bf16 v84, v68, s[8:9]                 // 000000006FDC: DD488000 00084454
	s_setvskip 0, 0                                            // 000000006FE4: BF108080
	s_setvskip s20, 2                                          // 000000006FE8: BF108214
	global_atomic_pk_add_bf16 v84, v69, s[8:9] offset:256      // 000000006FEC: DD488100 00084554
	s_setvskip 0, 0                                            // 000000006FF4: BF108080
	s_setvskip s20, 3                                          // 000000006FF8: BF108314
	global_atomic_pk_add_bf16 v86, v70, s[8:9]                 // 000000006FFC: DD488000 00084656
	s_setvskip 0, 0                                            // 000000007004: BF108080
	s_setvskip s20, 3                                          // 000000007008: BF108314
	global_atomic_pk_add_bf16 v86, v71, s[8:9] offset:256      // 00000000700C: DD488100 00084756
	s_setvskip 0, 0                                            // 000000007014: BF108080
	s_branch label_10F5                                        // 000000007018: BF82006E

000000000000701c <label_1087>:
	ds_read_b32 v64, v5 offset:17152                           // 00000000701C: D86C4300 40000005
	ds_read_b32 v65, v5 offset:21504                           // 000000007024: D86C5400 41000005
	ds_read_b32 v66, v5 offset:17160                           // 00000000702C: D86C4308 42000005
	ds_read_b32 v67, v5 offset:21512                           // 000000007034: D86C5408 43000005
	ds_read_b32 v68, v5 offset:17184                           // 00000000703C: D86C4320 44000005
	ds_read_b32 v69, v5 offset:21536                           // 000000007044: D86C5420 45000005
	ds_read_b32 v70, v5 offset:17192                           // 00000000704C: D86C4328 46000005
	ds_read_b32 v71, v5 offset:21544                           // 000000007054: D86C5428 47000005
	s_waitcnt lgkmcnt(0)                                       // 00000000705C: BF8CC07F
	s_setvskip s20, 0                                          // 000000007060: BF108014
	global_atomic_pk_add_bf16 v80, v64, s[8:9]                 // 000000007064: DD488000 00084050
	s_setvskip 0, 0                                            // 00000000706C: BF108080
	s_setvskip s20, 0                                          // 000000007070: BF108014
	global_atomic_pk_add_bf16 v80, v65, s[8:9] offset:256      // 000000007074: DD488100 00084150
	s_setvskip 0, 0                                            // 00000000707C: BF108080
	s_setvskip s20, 1                                          // 000000007080: BF108114
	global_atomic_pk_add_bf16 v82, v66, s[8:9]                 // 000000007084: DD488000 00084252
	s_setvskip 0, 0                                            // 00000000708C: BF108080
	s_setvskip s20, 1                                          // 000000007090: BF108114
	global_atomic_pk_add_bf16 v82, v67, s[8:9] offset:256      // 000000007094: DD488100 00084352
	s_setvskip 0, 0                                            // 00000000709C: BF108080
	s_setvskip s20, 2                                          // 0000000070A0: BF108214
	global_atomic_pk_add_bf16 v84, v68, s[8:9]                 // 0000000070A4: DD488000 00084454
	s_setvskip 0, 0                                            // 0000000070AC: BF108080
	s_setvskip s20, 2                                          // 0000000070B0: BF108214
	global_atomic_pk_add_bf16 v84, v69, s[8:9] offset:256      // 0000000070B4: DD488100 00084554
	s_setvskip 0, 0                                            // 0000000070BC: BF108080
	s_setvskip s20, 3                                          // 0000000070C0: BF108314
	global_atomic_pk_add_bf16 v86, v70, s[8:9]                 // 0000000070C4: DD488000 00084656
	s_setvskip 0, 0                                            // 0000000070CC: BF108080
	s_setvskip s20, 3                                          // 0000000070D0: BF108314
	global_atomic_pk_add_bf16 v86, v71, s[8:9] offset:256      // 0000000070D4: DD488100 00084756
	s_setvskip 0, 0                                            // 0000000070DC: BF108080
	s_add_u32 s8, s59, s8                                      // 0000000070E0: 8008083B
	s_addc_u32 s9, 0, s9                                       // 0000000070E4: 82090980
	ds_write_b64 v4, v[128:129] offset:34560                   // 0000000070E8: D89A8700 00008004
	ds_write_b64 v4, v[130:131] offset:36736                   // 0000000070F0: D89A8F80 00008204
	ds_write_b64 v4, v[132:133] offset:38912                   // 0000000070F8: D89A9800 00008404
	ds_write_b64 v4, v[134:135] offset:41088                   // 000000007100: D89AA080 00008604
	s_waitcnt lgkmcnt(0)                                       // 000000007108: BF8CC07F
	s_barrier                                                  // 00000000710C: BF8A0000
	ds_read_b32 v64, v5 offset:34560                           // 000000007110: D86C8700 40000005
	ds_read_b32 v65, v5 offset:38912                           // 000000007118: D86C9800 41000005
	ds_read_b32 v66, v5 offset:34568                           // 000000007120: D86C8708 42000005
	ds_read_b32 v67, v5 offset:38920                           // 000000007128: D86C9808 43000005
	ds_read_b32 v68, v5 offset:34592                           // 000000007130: D86C8720 44000005
	ds_read_b32 v69, v5 offset:38944                           // 000000007138: D86C9820 45000005
	ds_read_b32 v70, v5 offset:34600                           // 000000007140: D86C8728 46000005
	ds_read_b32 v71, v5 offset:38952                           // 000000007148: D86C9828 47000005
	s_waitcnt lgkmcnt(0)                                       // 000000007150: BF8CC07F
	s_setvskip s20, 0                                          // 000000007154: BF108014
	global_atomic_pk_add_bf16 v80, v64, s[8:9]                 // 000000007158: DD488000 00084050
	s_setvskip 0, 0                                            // 000000007160: BF108080
	s_setvskip s20, 0                                          // 000000007164: BF108014
	global_atomic_pk_add_bf16 v80, v65, s[8:9] offset:256      // 000000007168: DD488100 00084150
	s_setvskip 0, 0                                            // 000000007170: BF108080
	s_setvskip s20, 1                                          // 000000007174: BF108114
	global_atomic_pk_add_bf16 v82, v66, s[8:9]                 // 000000007178: DD488000 00084252
	s_setvskip 0, 0                                            // 000000007180: BF108080
	s_setvskip s20, 1                                          // 000000007184: BF108114
	global_atomic_pk_add_bf16 v82, v67, s[8:9] offset:256      // 000000007188: DD488100 00084352
	s_setvskip 0, 0                                            // 000000007190: BF108080
	s_setvskip s20, 2                                          // 000000007194: BF108214
	global_atomic_pk_add_bf16 v84, v68, s[8:9]                 // 000000007198: DD488000 00084454
	s_setvskip 0, 0                                            // 0000000071A0: BF108080
	s_setvskip s20, 2                                          // 0000000071A4: BF108214
	global_atomic_pk_add_bf16 v84, v69, s[8:9] offset:256      // 0000000071A8: DD488100 00084554
	s_setvskip 0, 0                                            // 0000000071B0: BF108080
	s_setvskip s20, 3                                          // 0000000071B4: BF108314
	global_atomic_pk_add_bf16 v86, v70, s[8:9]                 // 0000000071B8: DD488000 00084656
	s_setvskip 0, 0                                            // 0000000071C0: BF108080
	s_setvskip s20, 3                                          // 0000000071C4: BF108314
	global_atomic_pk_add_bf16 v86, v71, s[8:9] offset:256      // 0000000071C8: DD488100 00084756
	s_setvskip 0, 0                                            // 0000000071D0: BF108080

00000000000071d4 <label_10F5>:
	s_waitcnt vmcnt(0) expcnt(0) lgkmcnt(0)                    // 0000000071D4: BF8C0000
	s_endpgm                                                   // 0000000071D8: BF810000
